;; amdgpu-corpus repo=ROCm/rocFFT kind=compiled arch=gfx1100 opt=O3
	.text
	.amdgcn_target "amdgcn-amd-amdhsa--gfx1100"
	.amdhsa_code_object_version 6
	.protected	fft_rtc_back_len1960_factors_4_7_2_7_5_wgs_56_tpt_56_halfLds_dp_ip_CI_unitstride_sbrr_R2C_dirReg ; -- Begin function fft_rtc_back_len1960_factors_4_7_2_7_5_wgs_56_tpt_56_halfLds_dp_ip_CI_unitstride_sbrr_R2C_dirReg
	.globl	fft_rtc_back_len1960_factors_4_7_2_7_5_wgs_56_tpt_56_halfLds_dp_ip_CI_unitstride_sbrr_R2C_dirReg
	.p2align	8
	.type	fft_rtc_back_len1960_factors_4_7_2_7_5_wgs_56_tpt_56_halfLds_dp_ip_CI_unitstride_sbrr_R2C_dirReg,@function
fft_rtc_back_len1960_factors_4_7_2_7_5_wgs_56_tpt_56_halfLds_dp_ip_CI_unitstride_sbrr_R2C_dirReg: ; @fft_rtc_back_len1960_factors_4_7_2_7_5_wgs_56_tpt_56_halfLds_dp_ip_CI_unitstride_sbrr_R2C_dirReg
; %bb.0:
	s_clause 0x2
	s_load_b128 s[4:7], s[0:1], 0x0
	s_load_b64 s[8:9], s[0:1], 0x50
	s_load_b64 s[10:11], s[0:1], 0x18
	v_mul_u32_u24_e32 v1, 0x493, v0
	v_mov_b32_e32 v3, 0
	v_mov_b32_e32 v4, 0
	s_delay_alu instid0(VALU_DEP_3) | instskip(SKIP_1) | instid1(VALU_DEP_1)
	v_lshrrev_b32_e32 v2, 16, v1
	v_mov_b32_e32 v1, 0
	v_dual_mov_b32 v6, v1 :: v_dual_add_nc_u32 v5, s15, v2
	s_waitcnt lgkmcnt(0)
	v_cmp_lt_u64_e64 s2, s[6:7], 2
	s_delay_alu instid0(VALU_DEP_1)
	s_and_b32 vcc_lo, exec_lo, s2
	s_cbranch_vccnz .LBB0_8
; %bb.1:
	s_load_b64 s[2:3], s[0:1], 0x10
	v_mov_b32_e32 v3, 0
	s_add_u32 s12, s10, 8
	v_mov_b32_e32 v4, 0
	s_addc_u32 s13, s11, 0
	s_mov_b64 s[16:17], 1
	s_waitcnt lgkmcnt(0)
	s_add_u32 s14, s2, 8
	s_addc_u32 s15, s3, 0
.LBB0_2:                                ; =>This Inner Loop Header: Depth=1
	s_load_b64 s[18:19], s[14:15], 0x0
                                        ; implicit-def: $vgpr7_vgpr8
	s_mov_b32 s2, exec_lo
	s_waitcnt lgkmcnt(0)
	v_or_b32_e32 v2, s19, v6
	s_delay_alu instid0(VALU_DEP_1)
	v_cmpx_ne_u64_e32 0, v[1:2]
	s_xor_b32 s3, exec_lo, s2
	s_cbranch_execz .LBB0_4
; %bb.3:                                ;   in Loop: Header=BB0_2 Depth=1
	v_cvt_f32_u32_e32 v2, s18
	v_cvt_f32_u32_e32 v7, s19
	s_sub_u32 s2, 0, s18
	s_subb_u32 s20, 0, s19
	s_delay_alu instid0(VALU_DEP_1) | instskip(NEXT) | instid1(VALU_DEP_1)
	v_fmac_f32_e32 v2, 0x4f800000, v7
	v_rcp_f32_e32 v2, v2
	s_waitcnt_depctr 0xfff
	v_mul_f32_e32 v2, 0x5f7ffffc, v2
	s_delay_alu instid0(VALU_DEP_1) | instskip(NEXT) | instid1(VALU_DEP_1)
	v_mul_f32_e32 v7, 0x2f800000, v2
	v_trunc_f32_e32 v7, v7
	s_delay_alu instid0(VALU_DEP_1) | instskip(SKIP_1) | instid1(VALU_DEP_2)
	v_fmac_f32_e32 v2, 0xcf800000, v7
	v_cvt_u32_f32_e32 v7, v7
	v_cvt_u32_f32_e32 v2, v2
	s_delay_alu instid0(VALU_DEP_2) | instskip(NEXT) | instid1(VALU_DEP_2)
	v_mul_lo_u32 v8, s2, v7
	v_mul_hi_u32 v9, s2, v2
	v_mul_lo_u32 v10, s20, v2
	s_delay_alu instid0(VALU_DEP_2) | instskip(SKIP_1) | instid1(VALU_DEP_2)
	v_add_nc_u32_e32 v8, v9, v8
	v_mul_lo_u32 v9, s2, v2
	v_add_nc_u32_e32 v8, v8, v10
	s_delay_alu instid0(VALU_DEP_2) | instskip(NEXT) | instid1(VALU_DEP_2)
	v_mul_hi_u32 v10, v2, v9
	v_mul_lo_u32 v11, v2, v8
	v_mul_hi_u32 v12, v2, v8
	v_mul_hi_u32 v13, v7, v9
	v_mul_lo_u32 v9, v7, v9
	v_mul_hi_u32 v14, v7, v8
	v_mul_lo_u32 v8, v7, v8
	v_add_co_u32 v10, vcc_lo, v10, v11
	v_add_co_ci_u32_e32 v11, vcc_lo, 0, v12, vcc_lo
	s_delay_alu instid0(VALU_DEP_2) | instskip(NEXT) | instid1(VALU_DEP_2)
	v_add_co_u32 v9, vcc_lo, v10, v9
	v_add_co_ci_u32_e32 v9, vcc_lo, v11, v13, vcc_lo
	v_add_co_ci_u32_e32 v10, vcc_lo, 0, v14, vcc_lo
	s_delay_alu instid0(VALU_DEP_2) | instskip(NEXT) | instid1(VALU_DEP_2)
	v_add_co_u32 v8, vcc_lo, v9, v8
	v_add_co_ci_u32_e32 v9, vcc_lo, 0, v10, vcc_lo
	s_delay_alu instid0(VALU_DEP_2) | instskip(NEXT) | instid1(VALU_DEP_2)
	v_add_co_u32 v2, vcc_lo, v2, v8
	v_add_co_ci_u32_e32 v7, vcc_lo, v7, v9, vcc_lo
	s_delay_alu instid0(VALU_DEP_2) | instskip(SKIP_1) | instid1(VALU_DEP_3)
	v_mul_hi_u32 v8, s2, v2
	v_mul_lo_u32 v10, s20, v2
	v_mul_lo_u32 v9, s2, v7
	s_delay_alu instid0(VALU_DEP_1) | instskip(SKIP_1) | instid1(VALU_DEP_2)
	v_add_nc_u32_e32 v8, v8, v9
	v_mul_lo_u32 v9, s2, v2
	v_add_nc_u32_e32 v8, v8, v10
	s_delay_alu instid0(VALU_DEP_2) | instskip(NEXT) | instid1(VALU_DEP_2)
	v_mul_hi_u32 v10, v2, v9
	v_mul_lo_u32 v11, v2, v8
	v_mul_hi_u32 v12, v2, v8
	v_mul_hi_u32 v13, v7, v9
	v_mul_lo_u32 v9, v7, v9
	v_mul_hi_u32 v14, v7, v8
	v_mul_lo_u32 v8, v7, v8
	v_add_co_u32 v10, vcc_lo, v10, v11
	v_add_co_ci_u32_e32 v11, vcc_lo, 0, v12, vcc_lo
	s_delay_alu instid0(VALU_DEP_2) | instskip(NEXT) | instid1(VALU_DEP_2)
	v_add_co_u32 v9, vcc_lo, v10, v9
	v_add_co_ci_u32_e32 v9, vcc_lo, v11, v13, vcc_lo
	v_add_co_ci_u32_e32 v10, vcc_lo, 0, v14, vcc_lo
	s_delay_alu instid0(VALU_DEP_2) | instskip(NEXT) | instid1(VALU_DEP_2)
	v_add_co_u32 v8, vcc_lo, v9, v8
	v_add_co_ci_u32_e32 v9, vcc_lo, 0, v10, vcc_lo
	s_delay_alu instid0(VALU_DEP_2) | instskip(NEXT) | instid1(VALU_DEP_2)
	v_add_co_u32 v2, vcc_lo, v2, v8
	v_add_co_ci_u32_e32 v13, vcc_lo, v7, v9, vcc_lo
	s_delay_alu instid0(VALU_DEP_2) | instskip(SKIP_1) | instid1(VALU_DEP_3)
	v_mul_hi_u32 v14, v5, v2
	v_mad_u64_u32 v[9:10], null, v6, v2, 0
	v_mad_u64_u32 v[7:8], null, v5, v13, 0
	;; [unrolled: 1-line block ×3, first 2 shown]
	s_delay_alu instid0(VALU_DEP_2) | instskip(NEXT) | instid1(VALU_DEP_3)
	v_add_co_u32 v2, vcc_lo, v14, v7
	v_add_co_ci_u32_e32 v7, vcc_lo, 0, v8, vcc_lo
	s_delay_alu instid0(VALU_DEP_2) | instskip(NEXT) | instid1(VALU_DEP_2)
	v_add_co_u32 v2, vcc_lo, v2, v9
	v_add_co_ci_u32_e32 v2, vcc_lo, v7, v10, vcc_lo
	v_add_co_ci_u32_e32 v7, vcc_lo, 0, v12, vcc_lo
	s_delay_alu instid0(VALU_DEP_2) | instskip(NEXT) | instid1(VALU_DEP_2)
	v_add_co_u32 v2, vcc_lo, v2, v11
	v_add_co_ci_u32_e32 v9, vcc_lo, 0, v7, vcc_lo
	s_delay_alu instid0(VALU_DEP_2) | instskip(SKIP_1) | instid1(VALU_DEP_3)
	v_mul_lo_u32 v10, s19, v2
	v_mad_u64_u32 v[7:8], null, s18, v2, 0
	v_mul_lo_u32 v11, s18, v9
	s_delay_alu instid0(VALU_DEP_2) | instskip(NEXT) | instid1(VALU_DEP_2)
	v_sub_co_u32 v7, vcc_lo, v5, v7
	v_add3_u32 v8, v8, v11, v10
	s_delay_alu instid0(VALU_DEP_1) | instskip(NEXT) | instid1(VALU_DEP_1)
	v_sub_nc_u32_e32 v10, v6, v8
	v_subrev_co_ci_u32_e64 v10, s2, s19, v10, vcc_lo
	v_add_co_u32 v11, s2, v2, 2
	s_delay_alu instid0(VALU_DEP_1) | instskip(SKIP_3) | instid1(VALU_DEP_3)
	v_add_co_ci_u32_e64 v12, s2, 0, v9, s2
	v_sub_co_u32 v13, s2, v7, s18
	v_sub_co_ci_u32_e32 v8, vcc_lo, v6, v8, vcc_lo
	v_subrev_co_ci_u32_e64 v10, s2, 0, v10, s2
	v_cmp_le_u32_e32 vcc_lo, s18, v13
	s_delay_alu instid0(VALU_DEP_3) | instskip(SKIP_1) | instid1(VALU_DEP_4)
	v_cmp_eq_u32_e64 s2, s19, v8
	v_cndmask_b32_e64 v13, 0, -1, vcc_lo
	v_cmp_le_u32_e32 vcc_lo, s19, v10
	v_cndmask_b32_e64 v14, 0, -1, vcc_lo
	v_cmp_le_u32_e32 vcc_lo, s18, v7
	;; [unrolled: 2-line block ×3, first 2 shown]
	v_cndmask_b32_e64 v15, 0, -1, vcc_lo
	v_cmp_eq_u32_e32 vcc_lo, s19, v10
	s_delay_alu instid0(VALU_DEP_2) | instskip(SKIP_3) | instid1(VALU_DEP_3)
	v_cndmask_b32_e64 v7, v15, v7, s2
	v_cndmask_b32_e32 v10, v14, v13, vcc_lo
	v_add_co_u32 v13, vcc_lo, v2, 1
	v_add_co_ci_u32_e32 v14, vcc_lo, 0, v9, vcc_lo
	v_cmp_ne_u32_e32 vcc_lo, 0, v10
	s_delay_alu instid0(VALU_DEP_2) | instskip(NEXT) | instid1(VALU_DEP_4)
	v_cndmask_b32_e32 v8, v14, v12, vcc_lo
	v_cndmask_b32_e32 v10, v13, v11, vcc_lo
	v_cmp_ne_u32_e32 vcc_lo, 0, v7
	s_delay_alu instid0(VALU_DEP_2)
	v_dual_cndmask_b32 v7, v2, v10 :: v_dual_cndmask_b32 v8, v9, v8
.LBB0_4:                                ;   in Loop: Header=BB0_2 Depth=1
	s_and_not1_saveexec_b32 s2, s3
	s_cbranch_execz .LBB0_6
; %bb.5:                                ;   in Loop: Header=BB0_2 Depth=1
	v_cvt_f32_u32_e32 v2, s18
	s_sub_i32 s3, 0, s18
	s_delay_alu instid0(VALU_DEP_1) | instskip(SKIP_2) | instid1(VALU_DEP_1)
	v_rcp_iflag_f32_e32 v2, v2
	s_waitcnt_depctr 0xfff
	v_mul_f32_e32 v2, 0x4f7ffffe, v2
	v_cvt_u32_f32_e32 v2, v2
	s_delay_alu instid0(VALU_DEP_1) | instskip(NEXT) | instid1(VALU_DEP_1)
	v_mul_lo_u32 v7, s3, v2
	v_mul_hi_u32 v7, v2, v7
	s_delay_alu instid0(VALU_DEP_1) | instskip(NEXT) | instid1(VALU_DEP_1)
	v_add_nc_u32_e32 v2, v2, v7
	v_mul_hi_u32 v2, v5, v2
	s_delay_alu instid0(VALU_DEP_1) | instskip(SKIP_1) | instid1(VALU_DEP_2)
	v_mul_lo_u32 v7, v2, s18
	v_add_nc_u32_e32 v8, 1, v2
	v_sub_nc_u32_e32 v7, v5, v7
	s_delay_alu instid0(VALU_DEP_1) | instskip(SKIP_1) | instid1(VALU_DEP_2)
	v_subrev_nc_u32_e32 v9, s18, v7
	v_cmp_le_u32_e32 vcc_lo, s18, v7
	v_dual_cndmask_b32 v7, v7, v9 :: v_dual_cndmask_b32 v2, v2, v8
	s_delay_alu instid0(VALU_DEP_1) | instskip(NEXT) | instid1(VALU_DEP_2)
	v_cmp_le_u32_e32 vcc_lo, s18, v7
	v_add_nc_u32_e32 v8, 1, v2
	s_delay_alu instid0(VALU_DEP_1)
	v_dual_cndmask_b32 v7, v2, v8 :: v_dual_mov_b32 v8, v1
.LBB0_6:                                ;   in Loop: Header=BB0_2 Depth=1
	s_or_b32 exec_lo, exec_lo, s2
	s_load_b64 s[2:3], s[12:13], 0x0
	s_delay_alu instid0(VALU_DEP_1) | instskip(NEXT) | instid1(VALU_DEP_2)
	v_mul_lo_u32 v2, v8, s18
	v_mul_lo_u32 v11, v7, s19
	v_mad_u64_u32 v[9:10], null, v7, s18, 0
	s_add_u32 s16, s16, 1
	s_addc_u32 s17, s17, 0
	s_add_u32 s12, s12, 8
	s_addc_u32 s13, s13, 0
	;; [unrolled: 2-line block ×3, first 2 shown]
	s_delay_alu instid0(VALU_DEP_1) | instskip(SKIP_1) | instid1(VALU_DEP_2)
	v_add3_u32 v2, v10, v11, v2
	v_sub_co_u32 v9, vcc_lo, v5, v9
	v_sub_co_ci_u32_e32 v2, vcc_lo, v6, v2, vcc_lo
	s_waitcnt lgkmcnt(0)
	s_delay_alu instid0(VALU_DEP_2) | instskip(NEXT) | instid1(VALU_DEP_2)
	v_mul_lo_u32 v10, s3, v9
	v_mul_lo_u32 v2, s2, v2
	v_mad_u64_u32 v[5:6], null, s2, v9, v[3:4]
	v_cmp_ge_u64_e64 s2, s[16:17], s[6:7]
	s_delay_alu instid0(VALU_DEP_1) | instskip(NEXT) | instid1(VALU_DEP_2)
	s_and_b32 vcc_lo, exec_lo, s2
	v_add3_u32 v4, v10, v6, v2
	s_delay_alu instid0(VALU_DEP_3)
	v_mov_b32_e32 v3, v5
	s_cbranch_vccnz .LBB0_9
; %bb.7:                                ;   in Loop: Header=BB0_2 Depth=1
	v_dual_mov_b32 v5, v7 :: v_dual_mov_b32 v6, v8
	s_branch .LBB0_2
.LBB0_8:
	v_dual_mov_b32 v8, v6 :: v_dual_mov_b32 v7, v5
.LBB0_9:
	s_lshl_b64 s[2:3], s[6:7], 3
	v_mul_hi_u32 v1, 0x4924925, v0
	s_add_u32 s2, s10, s2
	s_addc_u32 s3, s11, s3
	s_load_b64 s[0:1], s[0:1], 0x20
	s_load_b64 s[2:3], s[2:3], 0x0
                                        ; implicit-def: $vgpr157
	s_delay_alu instid0(VALU_DEP_1) | instskip(NEXT) | instid1(VALU_DEP_1)
	v_mul_u32_u24_e32 v1, 56, v1
	v_sub_nc_u32_e32 v144, v0, v1
	s_delay_alu instid0(VALU_DEP_1)
	v_add_nc_u32_e32 v154, 56, v144
	v_add_nc_u32_e32 v163, 0x70, v144
	;; [unrolled: 1-line block ×5, first 2 shown]
	s_waitcnt lgkmcnt(0)
	v_cmp_gt_u64_e32 vcc_lo, s[0:1], v[7:8]
	v_mul_lo_u32 v2, s2, v8
	v_mul_lo_u32 v5, s3, v7
	v_mad_u64_u32 v[0:1], null, s2, v7, v[3:4]
	v_cmp_le_u64_e64 s0, s[0:1], v[7:8]
	v_add_nc_u32_e32 v159, 0x150, v144
	v_add_nc_u32_e32 v158, 0x188, v144
	v_or_b32_e32 v150, 0x1c0, v144
	v_add3_u32 v1, v5, v1, v2
	s_and_saveexec_b32 s1, s0
	s_delay_alu instid0(SALU_CYCLE_1)
	s_xor_b32 s0, exec_lo, s1
; %bb.10:
	v_add_nc_u32_e32 v154, 56, v144
	v_add_nc_u32_e32 v163, 0x70, v144
	;; [unrolled: 1-line block ×7, first 2 shown]
	v_or_b32_e32 v157, 0x1c0, v144
; %bb.11:
	s_or_saveexec_b32 s1, s0
	v_lshlrev_b64 v[0:1], 4, v[0:1]
	v_lshl_add_u32 v214, v144, 4, 0
	v_or_b32_e32 v156, 0x380, v144
	v_or_b32_e32 v148, 0x540, v144
	;; [unrolled: 1-line block ×3, first 2 shown]
	scratch_store_b64 off, v[0:1], off      ; 8-byte Folded Spill
	s_xor_b32 exec_lo, exec_lo, s1
	s_cbranch_execz .LBB0_13
; %bb.12:
	scratch_load_b64 v[2:3], off, off       ; 8-byte Folded Reload
	v_mov_b32_e32 v145, 0
	s_delay_alu instid0(VALU_DEP_1) | instskip(SKIP_4) | instid1(VALU_DEP_4)
	v_lshlrev_b64 v[0:1], 4, v[144:145]
	v_mov_b32_e32 v151, v145
	v_mov_b32_e32 v157, v145
	;; [unrolled: 1-line block ×4, first 2 shown]
	v_lshlrev_b64 v[16:17], 4, v[150:151]
	s_delay_alu instid0(VALU_DEP_4) | instskip(NEXT) | instid1(VALU_DEP_4)
	v_lshlrev_b64 v[66:67], 4, v[156:157]
	v_lshlrev_b64 v[68:69], 4, v[148:149]
	s_delay_alu instid0(VALU_DEP_4) | instskip(SKIP_3) | instid1(VALU_DEP_1)
	v_lshlrev_b64 v[70:71], 4, v[146:147]
	v_mov_b32_e32 v157, v150
	s_waitcnt vmcnt(0)
	v_add_co_u32 v74, s0, s8, v2
	v_add_co_ci_u32_e64 v75, s0, s9, v3, s0
	s_delay_alu instid0(VALU_DEP_2) | instskip(NEXT) | instid1(VALU_DEP_1)
	v_add_co_u32 v64, s0, v74, v0
	v_add_co_ci_u32_e64 v65, s0, v75, v1, s0
	s_clause 0x3
	global_load_b128 v[0:3], v[64:65], off
	global_load_b128 v[4:7], v[64:65], off offset:896
	global_load_b128 v[8:11], v[64:65], off offset:1792
	;; [unrolled: 1-line block ×3, first 2 shown]
	v_add_co_u32 v36, s0, 0x1000, v64
	s_delay_alu instid0(VALU_DEP_1) | instskip(SKIP_1) | instid1(VALU_DEP_1)
	v_add_co_ci_u32_e64 v37, s0, 0, v65, s0
	v_add_co_u32 v32, s0, v74, v16
	v_add_co_ci_u32_e64 v33, s0, v75, v17, s0
	v_add_co_u32 v52, s0, 0x2000, v64
	s_delay_alu instid0(VALU_DEP_1) | instskip(SKIP_1) | instid1(VALU_DEP_1)
	v_add_co_ci_u32_e64 v53, s0, 0, v65, s0
	v_add_co_u32 v72, s0, 0x3000, v64
	v_add_co_ci_u32_e64 v73, s0, 0, v65, s0
	;; [unrolled: 5-line block ×5, first 2 shown]
	v_add_co_u32 v136, s0, 0x7000, v64
	s_delay_alu instid0(VALU_DEP_1)
	v_add_co_ci_u32_e64 v137, s0, 0, v65, s0
	s_clause 0x1e
	global_load_b128 v[16:19], v[64:65], off offset:3584
	global_load_b128 v[20:23], v[36:37], off offset:384
	global_load_b128 v[24:27], v[36:37], off offset:1280
	global_load_b128 v[28:31], v[36:37], off offset:2176
	global_load_b128 v[32:35], v[32:33], off
	global_load_b128 v[36:39], v[36:37], off offset:3968
	global_load_b128 v[40:43], v[52:53], off offset:768
	global_load_b128 v[44:47], v[52:53], off offset:1664
	global_load_b128 v[48:51], v[52:53], off offset:2560
	global_load_b128 v[52:55], v[52:53], off offset:3456
	global_load_b128 v[56:59], v[72:73], off offset:256
	global_load_b128 v[60:63], v[72:73], off offset:1152
	global_load_b128 v[64:67], v[66:67], off
	global_load_b128 v[68:71], v[72:73], off offset:2944
	global_load_b128 v[72:75], v[72:73], off offset:3840
	global_load_b128 v[76:79], v[88:89], off offset:640
	;; [unrolled: 8-line block ×3, first 2 shown]
	global_load_b128 v[112:115], v[124:125], off offset:512
	global_load_b128 v[116:119], v[124:125], off offset:1408
	;; [unrolled: 1-line block ×4, first 2 shown]
	global_load_b128 v[128:131], v[128:129], off
	global_load_b128 v[132:135], v[136:137], off offset:896
	global_load_b128 v[136:139], v[136:137], off offset:1792
	s_waitcnt vmcnt(34)
	ds_store_b128 v214, v[0:3]
	s_waitcnt vmcnt(33)
	ds_store_b128 v214, v[4:7] offset:896
	s_waitcnt vmcnt(32)
	ds_store_b128 v214, v[8:11] offset:1792
	;; [unrolled: 2-line block ×34, first 2 shown]
.LBB0_13:
	s_or_b32 exec_lo, exec_lo, s1
	s_waitcnt lgkmcnt(0)
	s_waitcnt_vscnt null, 0x0
	s_barrier
	buffer_gl0_inv
	ds_load_b128 v[16:19], v214 offset:15680
	ds_load_b128 v[12:15], v214
	ds_load_b128 v[0:3], v214 offset:7840
	ds_load_b128 v[32:35], v214 offset:23520
	ds_load_b128 v[4:7], v214 offset:896
	ds_load_b128 v[20:23], v214 offset:16576
	ds_load_b128 v[8:11], v214 offset:7168
	ds_load_b128 v[24:27], v214 offset:22848
	ds_load_b128 v[36:39], v214 offset:8736
	ds_load_b128 v[40:43], v214 offset:9632
	ds_load_b128 v[44:47], v214 offset:24416
	ds_load_b128 v[48:51], v214 offset:25312
	ds_load_b128 v[52:55], v214 offset:1792
	ds_load_b128 v[56:59], v214 offset:2688
	ds_load_b128 v[60:63], v214 offset:17472
	ds_load_b128 v[64:67], v214 offset:18368
	ds_load_b128 v[68:71], v214 offset:10528
	ds_load_b128 v[72:75], v214 offset:11424
	ds_load_b128 v[76:79], v214 offset:26208
	ds_load_b128 v[80:83], v214 offset:27104
	ds_load_b128 v[84:87], v214 offset:3584
	ds_load_b128 v[88:91], v214 offset:4480
	ds_load_b128 v[92:95], v214 offset:19264
	ds_load_b128 v[96:99], v214 offset:20160
	ds_load_b128 v[100:103], v214 offset:12320
	ds_load_b128 v[104:107], v214 offset:13216
	ds_load_b128 v[108:111], v214 offset:28000
	ds_load_b128 v[112:115], v214 offset:28896
	v_lshl_add_u32 v145, v160, 6, 0
	s_mov_b32 s1, exec_lo
	s_waitcnt lgkmcnt(26)
	v_add_f64 v[28:29], v[12:13], -v[16:17]
	v_add_f64 v[30:31], v[14:15], -v[18:19]
	s_waitcnt lgkmcnt(24)
	v_add_f64 v[132:133], v[0:1], -v[32:33]
	v_add_f64 v[134:135], v[2:3], -v[34:35]
	ds_load_b128 v[32:35], v214 offset:5376
	ds_load_b128 v[116:119], v214 offset:6272
	;; [unrolled: 1-line block ×6, first 2 shown]
	s_waitcnt lgkmcnt(28)
	v_add_f64 v[136:137], v[4:5], -v[20:21]
	v_add_f64 v[138:139], v[6:7], -v[22:23]
	ds_load_b128 v[20:23], v214 offset:29792
	s_waitcnt lgkmcnt(12)
	v_add_f64 v[168:169], v[84:85], -v[92:93]
	v_add_f64 v[44:45], v[36:37], -v[44:45]
	;; [unrolled: 1-line block ×14, first 2 shown]
	s_waitcnt lgkmcnt(11)
	v_add_f64 v[172:173], v[88:89], -v[96:97]
	v_add_f64 v[174:175], v[90:91], -v[98:99]
	s_waitcnt lgkmcnt(8)
	v_add_f64 v[76:77], v[100:101], -v[108:109]
	v_add_f64 v[78:79], v[102:103], -v[110:111]
	;; [unrolled: 3-line block ×3, first 2 shown]
	v_add_f64 v[80:81], v[104:105], -v[112:113]
	v_add_f64 v[82:83], v[106:107], -v[114:115]
	s_waitcnt lgkmcnt(3)
	v_add_f64 v[180:181], v[116:117], -v[124:125]
	v_add_f64 v[182:183], v[118:119], -v[126:127]
	v_fma_f64 v[92:93], v[12:13], 2.0, -v[28:29]
	v_fma_f64 v[94:95], v[14:15], 2.0, -v[30:31]
	ds_load_b128 v[12:15], v214 offset:30688
	s_waitcnt lgkmcnt(1)
	v_add_f64 v[96:97], v[128:129], -v[20:21]
	v_add_f64 v[98:99], v[130:131], -v[22:23]
	v_fma_f64 v[0:1], v[0:1], 2.0, -v[132:133]
	v_fma_f64 v[2:3], v[2:3], 2.0, -v[134:135]
	;; [unrolled: 1-line block ×28, first 2 shown]
	v_add_f64 v[20:21], v[28:29], v[134:135]
	v_add_f64 v[22:23], v[30:31], -v[132:133]
	v_add_f64 v[36:37], v[136:137], v[46:47]
	v_add_f64 v[38:39], v[138:139], -v[44:45]
	;; [unrolled: 2-line block ×3, first 2 shown]
	s_waitcnt lgkmcnt(0)
	v_add_f64 v[14:15], v[18:19], -v[14:15]
	v_add_f64 v[12:13], v[16:17], -v[12:13]
	v_fma_f64 v[86:87], v[128:129], 2.0, -v[96:97]
	v_fma_f64 v[88:89], v[130:131], 2.0, -v[98:99]
	v_add_f64 v[0:1], v[92:93], -v[0:1]
	v_add_f64 v[2:3], v[94:95], -v[2:3]
	v_add_f64 v[72:73], v[176:177], v[82:83]
	v_add_f64 v[90:91], v[182:183], -v[96:97]
	v_add_f64 v[32:33], v[108:109], -v[4:5]
	;; [unrolled: 1-line block ×7, first 2 shown]
	s_barrier
	buffer_gl0_inv
	v_add_f64 v[56:57], v[124:125], -v[56:57]
	v_add_f64 v[58:59], v[126:127], -v[58:59]
	;; [unrolled: 1-line block ×4, first 2 shown]
	v_add_f64 v[52:53], v[164:165], v[62:63]
	v_add_f64 v[54:55], v[166:167], -v[60:61]
	v_add_f64 v[60:61], v[168:169], v[66:67]
	v_add_f64 v[62:63], v[170:171], -v[64:65]
	;; [unrolled: 2-line block ×3, first 2 shown]
	v_add_f64 v[70:71], v[186:187], -v[70:71]
	v_add_f64 v[66:67], v[174:175], -v[76:77]
	;; [unrolled: 1-line block ×5, first 2 shown]
	v_fma_f64 v[24:25], v[28:29], 2.0, -v[20:21]
	v_fma_f64 v[26:27], v[30:31], 2.0, -v[22:23]
	;; [unrolled: 1-line block ×4, first 2 shown]
	v_lshl_add_u32 v140, v144, 6, 0
	ds_store_b128 v140, v[0:3] offset:32
	ds_store_b128 v140, v[20:23] offset:48
	v_add_f64 v[80:81], v[192:193], -v[86:87]
	v_add_f64 v[82:83], v[194:195], -v[88:89]
	v_add_f64 v[88:89], v[180:181], v[98:99]
	v_fma_f64 v[84:85], v[92:93], 2.0, -v[0:1]
	v_fma_f64 v[86:87], v[94:95], 2.0, -v[2:3]
	v_fma_f64 v[28:29], v[108:109], 2.0, -v[32:33]
	v_fma_f64 v[30:31], v[110:111], 2.0, -v[34:35]
	v_fma_f64 v[96:97], v[112:113], 2.0, -v[40:41]
	v_fma_f64 v[98:99], v[114:115], 2.0, -v[42:43]
	v_fma_f64 v[92:93], v[136:137], 2.0, -v[36:37]
	v_fma_f64 v[94:95], v[138:139], 2.0, -v[38:39]
	v_add_f64 v[0:1], v[4:5], v[14:15]
	v_fma_f64 v[112:113], v[124:125], 2.0, -v[56:57]
	v_fma_f64 v[114:115], v[126:127], 2.0, -v[58:59]
	;; [unrolled: 1-line block ×8, first 2 shown]
	v_add_f64 v[2:3], v[6:7], -v[12:13]
	v_fma_f64 v[120:121], v[184:185], 2.0, -v[68:69]
	v_fma_f64 v[122:123], v[186:187], 2.0, -v[70:71]
	;; [unrolled: 1-line block ×9, first 2 shown]
	v_lshl_add_u32 v141, v154, 6, 0
	ds_store_b128 v140, v[84:87]
	ds_store_b128 v140, v[24:27] offset:16
	v_fma_f64 v[20:21], v[192:193], 2.0, -v[80:81]
	v_fma_f64 v[22:23], v[194:195], 2.0, -v[82:83]
	v_fma_f64 v[136:137], v[180:181], 2.0, -v[88:89]
	v_lshl_add_u32 v24, v163, 6, 0
	ds_store_b128 v141, v[32:35] offset:32
	ds_store_b128 v141, v[36:39] offset:48
	ds_store_b128 v141, v[28:31]
	ds_store_b128 v141, v[92:95] offset:16
	v_lshl_add_u32 v25, v162, 6, 0
	ds_store_b128 v24, v[40:43] offset:32
	ds_store_b128 v24, v[44:47] offset:48
	ds_store_b128 v24, v[96:99]
	ds_store_b128 v24, v[100:103] offset:16
	;; [unrolled: 5-line block ×3, first 2 shown]
	ds_store_b128 v24, v[112:115]
	ds_store_b128 v24, v[116:119] offset:16
	ds_store_b128 v24, v[56:59] offset:32
	;; [unrolled: 1-line block ×3, first 2 shown]
	v_lshl_add_u32 v24, v159, 6, 0
	v_lshl_add_u32 v25, v158, 6, 0
	ds_store_b128 v145, v[120:123]
	ds_store_b128 v145, v[124:127] offset:16
	ds_store_b128 v145, v[68:71] offset:32
	ds_store_b128 v145, v[64:67] offset:48
	ds_store_b128 v24, v[128:131]
	ds_store_b128 v24, v[132:135] offset:16
	ds_store_b128 v24, v[76:79] offset:32
	ds_store_b128 v24, v[72:75] offset:48
	;; [unrolled: 4-line block ×3, first 2 shown]
	v_cmpx_gt_u32_e32 42, v144
	s_cbranch_execz .LBB0_15
; %bb.14:
	v_fma_f64 v[20:21], v[10:11], 2.0, -v[6:7]
	v_fma_f64 v[10:11], v[18:19], 2.0, -v[14:15]
	;; [unrolled: 1-line block ×6, first 2 shown]
	v_lshl_add_u32 v16, v157, 6, 0
	v_add_f64 v[10:11], v[20:21], -v[10:11]
	v_add_f64 v[8:9], v[18:19], -v[8:9]
	s_delay_alu instid0(VALU_DEP_2) | instskip(NEXT) | instid1(VALU_DEP_2)
	v_fma_f64 v[14:15], v[20:21], 2.0, -v[10:11]
	v_fma_f64 v[12:13], v[18:19], 2.0, -v[8:9]
	ds_store_b128 v16, v[12:15]
	ds_store_b128 v16, v[4:7] offset:16
	ds_store_b128 v16, v[8:11] offset:32
	;; [unrolled: 1-line block ×3, first 2 shown]
.LBB0_15:
	s_or_b32 exec_lo, exec_lo, s1
	v_and_b32_e32 v155, 3, v144
	s_waitcnt lgkmcnt(0)
	s_barrier
	buffer_gl0_inv
	v_mad_i32_i24 v164, 0xffffffd0, v160, v145
	v_mul_u32_u24_e32 v4, 6, v155
	s_mov_b32 s6, 0x429ad128
	s_mov_b32 s18, 0x37e14327
	;; [unrolled: 1-line block ×3, first 2 shown]
	ds_load_b128 v[5:8], v164
	v_lshlrev_b32_e32 v4, 4, v4
	s_mov_b32 s19, 0x3fe948f6
	s_mov_b32 s0, 0x36b3c0b5
	;; [unrolled: 1-line block ×4, first 2 shown]
	s_clause 0x1
	global_load_b128 v[12:15], v4, s[4:5]
	global_load_b128 v[16:19], v4, s[4:5] offset:16
	ds_load_b128 v[20:23], v214 offset:5376
	ds_load_b128 v[165:168], v214
	s_mov_b32 s16, 0xb247c609
	s_mov_b32 s1, 0x3fac98ee
	;; [unrolled: 1-line block ×13, first 2 shown]
	v_lshl_add_u32 v215, v154, 4, 0
	v_lshl_add_u32 v151, v163, 4, 0
	;; [unrolled: 1-line block ×6, first 2 shown]
	s_waitcnt vmcnt(1) lgkmcnt(2)
	v_mul_f64 v[9:10], v[7:8], v[14:15]
	s_delay_alu instid0(VALU_DEP_1) | instskip(SKIP_1) | instid1(VALU_DEP_1)
	v_fma_f64 v[10:11], v[5:6], v[12:13], v[9:10]
	v_mul_f64 v[5:6], v[5:6], v[14:15]
	v_fma_f64 v[8:9], v[7:8], v[12:13], -v[5:6]
	s_waitcnt lgkmcnt(1)
	v_mul_f64 v[5:6], v[22:23], v[14:15]
	s_delay_alu instid0(VALU_DEP_1) | instskip(SKIP_1) | instid1(VALU_DEP_1)
	v_fma_f64 v[98:99], v[20:21], v[12:13], v[5:6]
	v_mul_f64 v[5:6], v[20:21], v[14:15]
	v_fma_f64 v[96:97], v[22:23], v[12:13], -v[5:6]
	ds_load_b128 v[20:23], v214 offset:6272
	ds_load_b128 v[24:27], v214 offset:7168
	s_waitcnt lgkmcnt(1)
	v_mul_f64 v[5:6], v[22:23], v[14:15]
	s_delay_alu instid0(VALU_DEP_1) | instskip(SKIP_1) | instid1(VALU_DEP_1)
	v_fma_f64 v[74:75], v[20:21], v[12:13], v[5:6]
	v_mul_f64 v[5:6], v[20:21], v[14:15]
	v_fma_f64 v[72:73], v[22:23], v[12:13], -v[5:6]
	s_waitcnt lgkmcnt(0)
	v_mul_f64 v[5:6], v[26:27], v[14:15]
	s_delay_alu instid0(VALU_DEP_1) | instskip(SKIP_1) | instid1(VALU_DEP_1)
	v_fma_f64 v[50:51], v[24:25], v[12:13], v[5:6]
	v_mul_f64 v[5:6], v[24:25], v[14:15]
	v_fma_f64 v[48:49], v[26:27], v[12:13], -v[5:6]
	ds_load_b128 v[20:23], v214 offset:8064
	ds_load_b128 v[24:27], v214 offset:8960
	s_waitcnt lgkmcnt(1)
	v_mul_f64 v[5:6], v[22:23], v[14:15]
	s_delay_alu instid0(VALU_DEP_1) | instskip(SKIP_1) | instid1(VALU_DEP_1)
	v_fma_f64 v[34:35], v[20:21], v[12:13], v[5:6]
	v_mul_f64 v[5:6], v[20:21], v[14:15]
	v_fma_f64 v[32:33], v[22:23], v[12:13], -v[5:6]
	s_waitcnt vmcnt(0) lgkmcnt(0)
	v_mul_f64 v[5:6], v[26:27], v[18:19]
	s_delay_alu instid0(VALU_DEP_1) | instskip(SKIP_1) | instid1(VALU_DEP_1)
	v_fma_f64 v[14:15], v[24:25], v[16:17], v[5:6]
	v_mul_f64 v[5:6], v[24:25], v[18:19]
	v_fma_f64 v[12:13], v[26:27], v[16:17], -v[5:6]
	ds_load_b128 v[20:23], v214 offset:9856
	ds_load_b128 v[24:27], v214 offset:10752
	s_waitcnt lgkmcnt(1)
	v_mul_f64 v[5:6], v[22:23], v[18:19]
	s_delay_alu instid0(VALU_DEP_1) | instskip(SKIP_1) | instid1(VALU_DEP_1)
	v_fma_f64 v[106:107], v[20:21], v[16:17], v[5:6]
	v_mul_f64 v[5:6], v[20:21], v[18:19]
	v_fma_f64 v[104:105], v[22:23], v[16:17], -v[5:6]
	s_waitcnt lgkmcnt(0)
	v_mul_f64 v[5:6], v[26:27], v[18:19]
	s_delay_alu instid0(VALU_DEP_1) | instskip(SKIP_1) | instid1(VALU_DEP_1)
	v_fma_f64 v[82:83], v[24:25], v[16:17], v[5:6]
	v_mul_f64 v[5:6], v[24:25], v[18:19]
	v_fma_f64 v[80:81], v[26:27], v[16:17], -v[5:6]
	ds_load_b128 v[20:23], v214 offset:11648
	ds_load_b128 v[24:27], v214 offset:12544
	s_waitcnt lgkmcnt(1)
	v_mul_f64 v[5:6], v[22:23], v[18:19]
	s_delay_alu instid0(VALU_DEP_1) | instskip(SKIP_1) | instid1(VALU_DEP_1)
	v_fma_f64 v[58:59], v[20:21], v[16:17], v[5:6]
	v_mul_f64 v[5:6], v[20:21], v[18:19]
	v_fma_f64 v[56:57], v[22:23], v[16:17], -v[5:6]
	global_load_b128 v[20:23], v4, s[4:5] offset:32
	s_waitcnt lgkmcnt(0)
	v_mul_f64 v[5:6], v[26:27], v[18:19]
	s_delay_alu instid0(VALU_DEP_1) | instskip(SKIP_1) | instid1(VALU_DEP_1)
	v_fma_f64 v[38:39], v[24:25], v[16:17], v[5:6]
	v_mul_f64 v[5:6], v[24:25], v[18:19]
	v_fma_f64 v[36:37], v[26:27], v[16:17], -v[5:6]
	ds_load_b128 v[24:27], v214 offset:13440
	ds_load_b128 v[28:31], v214 offset:14336
	global_load_b128 v[52:55], v4, s[4:5] offset:48
	s_waitcnt vmcnt(1) lgkmcnt(1)
	v_mul_f64 v[5:6], v[26:27], v[22:23]
	s_delay_alu instid0(VALU_DEP_1) | instskip(SKIP_1) | instid1(VALU_DEP_1)
	v_fma_f64 v[18:19], v[24:25], v[20:21], v[5:6]
	v_mul_f64 v[5:6], v[24:25], v[22:23]
	v_fma_f64 v[16:17], v[26:27], v[20:21], -v[5:6]
	s_waitcnt lgkmcnt(0)
	v_mul_f64 v[5:6], v[30:31], v[22:23]
	s_delay_alu instid0(VALU_DEP_1) | instskip(SKIP_1) | instid1(VALU_DEP_1)
	v_fma_f64 v[114:115], v[28:29], v[20:21], v[5:6]
	v_mul_f64 v[5:6], v[28:29], v[22:23]
	v_fma_f64 v[112:113], v[30:31], v[20:21], -v[5:6]
	ds_load_b128 v[24:27], v214 offset:15232
	ds_load_b128 v[28:31], v214 offset:16128
	s_waitcnt lgkmcnt(1)
	v_mul_f64 v[5:6], v[26:27], v[22:23]
	s_delay_alu instid0(VALU_DEP_1) | instskip(SKIP_1) | instid1(VALU_DEP_1)
	v_fma_f64 v[90:91], v[24:25], v[20:21], v[5:6]
	v_mul_f64 v[5:6], v[24:25], v[22:23]
	v_fma_f64 v[88:89], v[26:27], v[20:21], -v[5:6]
	s_waitcnt lgkmcnt(0)
	v_mul_f64 v[5:6], v[30:31], v[22:23]
	s_delay_alu instid0(VALU_DEP_1) | instskip(SKIP_1) | instid1(VALU_DEP_1)
	v_fma_f64 v[66:67], v[28:29], v[20:21], v[5:6]
	v_mul_f64 v[5:6], v[28:29], v[22:23]
	v_fma_f64 v[64:65], v[30:31], v[20:21], -v[5:6]
	ds_load_b128 v[24:27], v214 offset:17024
	ds_load_b128 v[28:31], v214 offset:17920
	s_waitcnt lgkmcnt(1)
	v_mul_f64 v[5:6], v[26:27], v[22:23]
	s_delay_alu instid0(VALU_DEP_1) | instskip(SKIP_1) | instid1(VALU_DEP_1)
	v_fma_f64 v[42:43], v[24:25], v[20:21], v[5:6]
	v_mul_f64 v[5:6], v[24:25], v[22:23]
	v_fma_f64 v[40:41], v[26:27], v[20:21], -v[5:6]
	s_waitcnt vmcnt(0) lgkmcnt(0)
	v_mul_f64 v[5:6], v[30:31], v[54:55]
	s_delay_alu instid0(VALU_DEP_1) | instskip(SKIP_1) | instid1(VALU_DEP_1)
	v_fma_f64 v[22:23], v[28:29], v[52:53], v[5:6]
	v_mul_f64 v[5:6], v[28:29], v[54:55]
	v_fma_f64 v[20:21], v[30:31], v[52:53], -v[5:6]
	ds_load_b128 v[24:27], v214 offset:18816
	ds_load_b128 v[28:31], v214 offset:19712
	s_waitcnt lgkmcnt(1)
	v_mul_f64 v[5:6], v[26:27], v[54:55]
	s_delay_alu instid0(VALU_DEP_1) | instskip(SKIP_1) | instid1(VALU_DEP_1)
	v_fma_f64 v[118:119], v[24:25], v[52:53], v[5:6]
	v_mul_f64 v[5:6], v[24:25], v[54:55]
	v_fma_f64 v[116:117], v[26:27], v[52:53], -v[5:6]
	s_waitcnt lgkmcnt(0)
	v_mul_f64 v[5:6], v[30:31], v[54:55]
	s_delay_alu instid0(VALU_DEP_1) | instskip(SKIP_1) | instid1(VALU_DEP_1)
	v_fma_f64 v[94:95], v[28:29], v[52:53], v[5:6]
	v_mul_f64 v[5:6], v[28:29], v[54:55]
	v_fma_f64 v[92:93], v[30:31], v[52:53], -v[5:6]
	ds_load_b128 v[24:27], v214 offset:20608
	ds_load_b128 v[28:31], v214 offset:21504
	s_waitcnt lgkmcnt(1)
	v_mul_f64 v[5:6], v[26:27], v[54:55]
	s_delay_alu instid0(VALU_DEP_1) | instskip(SKIP_1) | instid1(VALU_DEP_1)
	v_fma_f64 v[70:71], v[24:25], v[52:53], v[5:6]
	v_mul_f64 v[5:6], v[24:25], v[54:55]
	v_fma_f64 v[68:69], v[26:27], v[52:53], -v[5:6]
	s_waitcnt lgkmcnt(0)
	v_mul_f64 v[5:6], v[30:31], v[54:55]
	s_delay_alu instid0(VALU_DEP_1) | instskip(SKIP_1) | instid1(VALU_DEP_1)
	v_fma_f64 v[46:47], v[28:29], v[52:53], v[5:6]
	v_mul_f64 v[5:6], v[28:29], v[54:55]
	v_fma_f64 v[44:45], v[30:31], v[52:53], -v[5:6]
	s_clause 0x1
	global_load_b128 v[28:31], v4, s[4:5] offset:64
	global_load_b128 v[4:7], v4, s[4:5] offset:80
	ds_load_b128 v[52:55], v214 offset:22400
	ds_load_b128 v[60:63], v214 offset:23296
	s_waitcnt vmcnt(1) lgkmcnt(1)
	v_mul_f64 v[24:25], v[54:55], v[30:31]
	s_delay_alu instid0(VALU_DEP_1) | instskip(SKIP_3) | instid1(VALU_DEP_3)
	v_fma_f64 v[26:27], v[52:53], v[28:29], v[24:25]
	v_mul_f64 v[24:25], v[52:53], v[30:31]
	s_waitcnt lgkmcnt(0)
	v_mul_f64 v[52:53], v[62:63], v[30:31]
	v_add_f64 v[140:141], v[14:15], v[26:27]
	s_delay_alu instid0(VALU_DEP_3) | instskip(NEXT) | instid1(VALU_DEP_3)
	v_fma_f64 v[24:25], v[54:55], v[28:29], -v[24:25]
	v_fma_f64 v[122:123], v[60:61], v[28:29], v[52:53]
	v_mul_f64 v[52:53], v[60:61], v[30:31]
	v_add_f64 v[14:15], v[14:15], -v[26:27]
	s_delay_alu instid0(VALU_DEP_4) | instskip(NEXT) | instid1(VALU_DEP_3)
	v_add_f64 v[142:143], v[12:13], v[24:25]
	v_fma_f64 v[120:121], v[62:63], v[28:29], -v[52:53]
	ds_load_b128 v[52:55], v214 offset:24192
	ds_load_b128 v[60:63], v214 offset:25088
	s_waitcnt lgkmcnt(1)
	v_mul_f64 v[76:77], v[54:55], v[30:31]
	s_delay_alu instid0(VALU_DEP_1) | instskip(SKIP_1) | instid1(VALU_DEP_1)
	v_fma_f64 v[102:103], v[52:53], v[28:29], v[76:77]
	v_mul_f64 v[52:53], v[52:53], v[30:31]
	v_fma_f64 v[100:101], v[54:55], v[28:29], -v[52:53]
	s_waitcnt lgkmcnt(0)
	v_mul_f64 v[52:53], v[62:63], v[30:31]
	s_delay_alu instid0(VALU_DEP_1) | instskip(SKIP_1) | instid1(VALU_DEP_1)
	v_fma_f64 v[78:79], v[60:61], v[28:29], v[52:53]
	v_mul_f64 v[52:53], v[60:61], v[30:31]
	v_fma_f64 v[76:77], v[62:63], v[28:29], -v[52:53]
	ds_load_b128 v[60:63], v214 offset:25984
	ds_load_b128 v[84:87], v214 offset:26880
	s_waitcnt lgkmcnt(1)
	v_mul_f64 v[52:53], v[62:63], v[30:31]
	v_mul_f64 v[30:31], v[60:61], v[30:31]
	s_delay_alu instid0(VALU_DEP_2) | instskip(NEXT) | instid1(VALU_DEP_2)
	v_fma_f64 v[54:55], v[60:61], v[28:29], v[52:53]
	v_fma_f64 v[52:53], v[62:63], v[28:29], -v[30:31]
	s_waitcnt vmcnt(0) lgkmcnt(0)
	v_mul_f64 v[28:29], v[86:87], v[6:7]
	s_delay_alu instid0(VALU_DEP_1) | instskip(SKIP_1) | instid1(VALU_DEP_1)
	v_fma_f64 v[136:137], v[84:85], v[4:5], v[28:29]
	v_mul_f64 v[28:29], v[84:85], v[6:7]
	v_fma_f64 v[132:133], v[86:87], v[4:5], -v[28:29]
	ds_load_b128 v[28:31], v214 offset:27776
	ds_load_b128 v[60:63], v214 offset:28672
	s_waitcnt lgkmcnt(1)
	v_mul_f64 v[84:85], v[30:31], v[6:7]
	s_delay_alu instid0(VALU_DEP_1) | instskip(SKIP_1) | instid1(VALU_DEP_1)
	v_fma_f64 v[126:127], v[28:29], v[4:5], v[84:85]
	v_mul_f64 v[28:29], v[28:29], v[6:7]
	v_fma_f64 v[124:125], v[30:31], v[4:5], -v[28:29]
	s_waitcnt lgkmcnt(0)
	v_mul_f64 v[28:29], v[62:63], v[6:7]
	s_delay_alu instid0(VALU_DEP_1) | instskip(SKIP_1) | instid1(VALU_DEP_1)
	v_fma_f64 v[110:111], v[60:61], v[4:5], v[28:29]
	v_mul_f64 v[28:29], v[60:61], v[6:7]
	v_fma_f64 v[108:109], v[62:63], v[4:5], -v[28:29]
	ds_load_b128 v[28:31], v214 offset:29568
	ds_load_b128 v[128:131], v214 offset:30464
	s_waitcnt lgkmcnt(1)
	v_mul_f64 v[60:61], v[30:31], v[6:7]
	s_delay_alu instid0(VALU_DEP_1) | instskip(SKIP_1) | instid1(VALU_DEP_1)
	v_fma_f64 v[86:87], v[28:29], v[4:5], v[60:61]
	v_mul_f64 v[28:29], v[28:29], v[6:7]
	v_fma_f64 v[84:85], v[30:31], v[4:5], -v[28:29]
	s_waitcnt lgkmcnt(0)
	v_mul_f64 v[28:29], v[130:131], v[6:7]
	v_mul_f64 v[6:7], v[128:129], v[6:7]
	v_add_f64 v[30:31], v[18:19], v[22:23]
	v_add_f64 v[18:19], v[22:23], -v[18:19]
	v_add_f64 v[22:23], v[10:11], -v[136:137]
	v_fma_f64 v[62:63], v[128:129], v[4:5], v[28:29]
	v_add_f64 v[28:29], v[10:11], v[136:137]
	v_fma_f64 v[60:61], v[130:131], v[4:5], -v[6:7]
	v_add_f64 v[128:129], v[8:9], v[132:133]
	v_add_f64 v[130:131], v[16:17], v[20:21]
	v_add_f64 v[10:11], v[12:13], -v[24:25]
	v_add_f64 v[16:17], v[20:21], -v[16:17]
	;; [unrolled: 1-line block ×4, first 2 shown]
	v_add_f64 v[8:9], v[18:19], v[14:15]
	v_add_f64 v[12:13], v[18:19], -v[14:15]
	v_add_f64 v[4:5], v[140:141], v[28:29]
	v_add_f64 v[24:25], v[140:141], -v[28:29]
	v_add_f64 v[140:141], v[14:15], -v[22:23]
	;; [unrolled: 1-line block ×5, first 2 shown]
	v_add_f64 v[14:15], v[16:17], v[10:11]
	v_mul_f64 v[171:172], v[12:13], s[14:15]
	v_add_f64 v[134:135], v[30:31], v[4:5]
	v_add_f64 v[4:5], v[142:143], v[128:129]
	v_add_f64 v[30:31], v[128:129], -v[130:131]
	v_add_f64 v[142:143], v[16:17], -v[10:11]
	;; [unrolled: 1-line block ×3, first 2 shown]
	v_mul_f64 v[28:29], v[28:29], s[18:19]
	v_add_f64 v[169:170], v[14:15], v[20:21]
	v_fma_f64 v[12:13], v[140:141], s[6:7], -v[171:172]
	v_add_f64 v[138:139], v[130:131], v[4:5]
	v_add_f64 v[4:5], v[165:166], v[134:135]
	v_add_f64 v[165:166], v[10:11], -v[20:21]
	v_add_f64 v[130:131], v[20:21], -v[16:17]
	v_mul_f64 v[16:17], v[140:141], s[6:7]
	v_mul_f64 v[30:31], v[30:31], s[18:19]
	;; [unrolled: 1-line block ×3, first 2 shown]
	v_fma_f64 v[20:21], v[24:25], s[20:21], -v[28:29]
	v_mul_f64 v[142:143], v[142:143], s[14:15]
	v_add_f64 v[6:7], v[167:168], v[138:139]
	v_add_f64 v[167:168], v[8:9], v[22:23]
	v_mul_f64 v[18:19], v[165:166], s[6:7]
	v_mul_f64 v[8:9], v[26:27], s[0:1]
	v_fma_f64 v[134:135], v[134:135], s[10:11], v[4:5]
	v_fma_f64 v[16:17], v[128:129], s[22:23], -v[16:17]
	v_fma_f64 v[22:23], v[132:133], s[20:21], -v[30:31]
	;; [unrolled: 1-line block ×3, first 2 shown]
	v_fma_f64 v[26:27], v[26:27], s[0:1], v[28:29]
	v_fma_f64 v[28:29], v[136:137], s[0:1], v[30:31]
	v_fma_f64 v[138:139], v[138:139], s[10:11], v[6:7]
	v_fma_f64 v[14:15], v[167:168], s[2:3], v[12:13]
	v_fma_f64 v[18:19], v[130:131], s[22:23], -v[18:19]
	v_fma_f64 v[8:9], v[24:25], s[12:13], -v[8:9]
	;; [unrolled: 1-line block ×3, first 2 shown]
	v_fma_f64 v[24:25], v[167:168], s[2:3], v[16:17]
	v_add_f64 v[26:27], v[26:27], v[134:135]
	v_add_f64 v[132:133], v[22:23], v[138:139]
	;; [unrolled: 1-line block ×3, first 2 shown]
	v_fma_f64 v[16:17], v[169:170], s[2:3], v[18:19]
	v_add_f64 v[18:19], v[20:21], v[134:135]
	v_fma_f64 v[12:13], v[169:170], s[2:3], v[12:13]
	v_add_f64 v[173:174], v[8:9], v[134:135]
	v_add_f64 v[175:176], v[10:11], v[138:139]
	v_add_f64 v[22:23], v[132:133], -v[24:25]
	v_add_f64 v[20:21], v[16:17], v[18:19]
	v_add_f64 v[16:17], v[18:19], -v[16:17]
	v_add_f64 v[18:19], v[24:25], v[132:133]
	v_fma_f64 v[24:25], v[128:129], s[16:17], v[171:172]
	v_fma_f64 v[128:129], v[130:131], s[16:17], v[142:143]
	v_add_f64 v[8:9], v[173:174], -v[12:13]
	v_add_f64 v[10:11], v[14:15], v[175:176]
	v_add_f64 v[12:13], v[12:13], v[173:174]
	v_add_f64 v[14:15], v[175:176], -v[14:15]
	v_fma_f64 v[30:31], v[167:168], s[2:3], v[24:25]
	v_fma_f64 v[24:25], v[169:170], s[2:3], v[128:129]
	s_delay_alu instid0(VALU_DEP_2) | instskip(NEXT) | instid1(VALU_DEP_2)
	v_add_f64 v[130:131], v[28:29], -v[30:31]
	v_add_f64 v[128:129], v[24:25], v[26:27]
	v_add_f64 v[24:25], v[26:27], -v[24:25]
	v_add_f64 v[26:27], v[30:31], v[28:29]
	v_lshrrev_b32_e32 v28, 2, v144
	s_delay_alu instid0(VALU_DEP_1) | instskip(NEXT) | instid1(VALU_DEP_1)
	v_mul_u32_u24_e32 v28, 28, v28
	v_or_b32_e32 v28, v28, v155
	s_delay_alu instid0(VALU_DEP_1)
	v_lshl_add_u32 v152, v28, 4, 0
	ds_load_b128 v[132:135], v215
	ds_load_b128 v[136:139], v151
	ds_load_b128 v[140:143], v149
	ds_load_b128 v[28:31], v147
	s_waitcnt lgkmcnt(0)
	s_barrier
	buffer_gl0_inv
	ds_store_b128 v152, v[4:7]
	ds_store_b128 v152, v[128:131] offset:64
	ds_store_b128 v152, v[20:23] offset:128
	;; [unrolled: 1-line block ×6, first 2 shown]
	v_add_f64 v[16:17], v[98:99], v[126:127]
	v_add_f64 v[8:9], v[106:107], v[122:123]
	;; [unrolled: 1-line block ×6, first 2 shown]
	v_add_f64 v[24:25], v[106:107], -v[122:123]
	v_add_f64 v[26:27], v[118:119], -v[114:115]
	;; [unrolled: 1-line block ×6, first 2 shown]
	v_add_f64 v[4:5], v[8:9], v[16:17]
	v_add_f64 v[112:113], v[8:9], -v[16:17]
	v_add_f64 v[114:115], v[18:19], -v[8:9]
	;; [unrolled: 1-line block ×5, first 2 shown]
	v_add_f64 v[8:9], v[26:27], v[24:25]
	v_add_f64 v[120:121], v[106:107], v[104:105]
	v_add_f64 v[122:123], v[106:107], -v[104:105]
	v_add_f64 v[104:105], v[104:105], -v[96:97]
	v_add_f64 v[10:11], v[18:19], v[4:5]
	v_add_f64 v[4:5], v[12:13], v[20:21]
	v_add_f64 v[12:13], v[26:27], -v[24:25]
	v_add_f64 v[24:25], v[24:25], -v[98:99]
	;; [unrolled: 1-line block ×4, first 2 shown]
	v_add_f64 v[124:125], v[8:9], v[98:99]
	v_mul_f64 v[8:9], v[114:115], s[0:1]
	v_add_f64 v[120:121], v[120:121], v[96:97]
	v_add_f64 v[96:97], v[96:97], -v[106:107]
	v_mul_f64 v[122:123], v[122:123], s[14:15]
	v_add_f64 v[14:15], v[22:23], v[4:5]
	v_add_f64 v[4:5], v[132:133], v[10:11]
	v_mul_f64 v[126:127], v[12:13], s[14:15]
	v_mul_f64 v[20:21], v[24:25], s[6:7]
	;; [unrolled: 1-line block ×5, first 2 shown]
	v_fma_f64 v[8:9], v[112:113], s[12:13], -v[8:9]
	v_add_f64 v[6:7], v[134:135], v[14:15]
	v_fma_f64 v[128:129], v[10:11], s[10:11], v[4:5]
	v_fma_f64 v[10:11], v[24:25], s[6:7], -v[126:127]
	v_mul_f64 v[24:25], v[16:17], s[18:19]
	v_fma_f64 v[16:17], v[26:27], s[22:23], -v[20:21]
	v_fma_f64 v[18:19], v[96:97], s[22:23], -v[22:23]
	;; [unrolled: 1-line block ×3, first 2 shown]
	v_fma_f64 v[26:27], v[26:27], s[16:17], v[126:127]
	v_fma_f64 v[96:97], v[96:97], s[16:17], v[122:123]
	;; [unrolled: 1-line block ×3, first 2 shown]
	v_fma_f64 v[12:13], v[116:117], s[12:13], -v[12:13]
	v_fma_f64 v[130:131], v[14:15], s[10:11], v[6:7]
	v_add_f64 v[134:135], v[8:9], v[128:129]
	v_fma_f64 v[14:15], v[124:125], s[2:3], v[10:11]
	v_fma_f64 v[20:21], v[112:113], s[20:21], -v[24:25]
	v_fma_f64 v[10:11], v[104:105], s[6:7], -v[122:123]
	v_fma_f64 v[104:105], v[124:125], s[2:3], v[16:17]
	v_fma_f64 v[106:107], v[120:121], s[2:3], v[18:19]
	;; [unrolled: 1-line block ×4, first 2 shown]
	v_add_f64 v[22:23], v[22:23], v[130:131]
	v_add_f64 v[98:99], v[98:99], v[130:131]
	v_add_f64 v[165:166], v[12:13], v[130:131]
	v_add_f64 v[20:21], v[20:21], v[128:129]
	v_fma_f64 v[132:133], v[120:121], s[2:3], v[10:11]
	v_add_f64 v[18:19], v[22:23], -v[104:105]
	v_add_f64 v[22:23], v[104:105], v[22:23]
	v_fma_f64 v[104:105], v[124:125], s[2:3], v[26:27]
	v_add_f64 v[16:17], v[106:107], v[20:21]
	v_add_f64 v[20:21], v[20:21], -v[106:107]
	v_add_f64 v[106:107], v[24:25], v[128:129]
	v_add_f64 v[8:9], v[134:135], -v[132:133]
	v_add_f64 v[10:11], v[14:15], v[165:166]
	v_add_f64 v[12:13], v[132:133], v[134:135]
	v_add_f64 v[14:15], v[165:166], -v[14:15]
	v_add_f64 v[26:27], v[98:99], -v[104:105]
	v_add_f64 v[98:99], v[104:105], v[98:99]
	v_lshrrev_b32_e32 v104, 2, v154
	v_add_f64 v[24:25], v[96:97], v[106:107]
	v_add_f64 v[96:97], v[106:107], -v[96:97]
	s_delay_alu instid0(VALU_DEP_3) | instskip(NEXT) | instid1(VALU_DEP_1)
	v_mul_lo_u32 v104, v104, 28
	v_or_b32_e32 v104, v104, v155
	s_delay_alu instid0(VALU_DEP_1)
	v_lshl_add_u32 v104, v104, 4, 0
	ds_store_b128 v104, v[4:7]
	ds_store_b128 v104, v[24:27] offset:64
	ds_store_b128 v104, v[16:19] offset:128
	;; [unrolled: 1-line block ×6, first 2 shown]
	v_add_f64 v[16:17], v[74:75], v[110:111]
	v_add_f64 v[8:9], v[82:83], v[102:103]
	;; [unrolled: 1-line block ×6, first 2 shown]
	v_add_f64 v[24:25], v[82:83], -v[102:103]
	v_add_f64 v[26:27], v[94:95], -v[90:91]
	;; [unrolled: 1-line block ×6, first 2 shown]
	v_add_f64 v[4:5], v[8:9], v[16:17]
	v_add_f64 v[88:89], v[8:9], -v[16:17]
	v_add_f64 v[90:91], v[18:19], -v[8:9]
	v_add_f64 v[92:93], v[12:13], -v[20:21]
	v_add_f64 v[94:95], v[22:23], -v[12:13]
	v_add_f64 v[16:17], v[16:17], -v[18:19]
	v_add_f64 v[8:9], v[26:27], v[24:25]
	v_add_f64 v[96:97], v[82:83], v[80:81]
	v_add_f64 v[98:99], v[82:83], -v[80:81]
	v_add_f64 v[80:81], v[80:81], -v[72:73]
	v_add_f64 v[10:11], v[18:19], v[4:5]
	v_add_f64 v[4:5], v[12:13], v[20:21]
	v_add_f64 v[12:13], v[26:27], -v[24:25]
	v_add_f64 v[24:25], v[24:25], -v[74:75]
	v_add_f64 v[18:19], v[20:21], -v[22:23]
	v_add_f64 v[26:27], v[74:75], -v[26:27]
	v_add_f64 v[100:101], v[8:9], v[74:75]
	v_mul_f64 v[8:9], v[90:91], s[0:1]
	v_add_f64 v[96:97], v[96:97], v[72:73]
	v_add_f64 v[72:73], v[72:73], -v[82:83]
	v_mul_f64 v[98:99], v[98:99], s[14:15]
	v_add_f64 v[14:15], v[22:23], v[4:5]
	v_add_f64 v[4:5], v[136:137], v[10:11]
	v_mul_f64 v[102:103], v[12:13], s[14:15]
	v_mul_f64 v[20:21], v[24:25], s[6:7]
	v_mul_f64 v[22:23], v[80:81], s[6:7]
	v_mul_f64 v[74:75], v[18:19], s[18:19]
	v_mul_f64 v[12:13], v[94:95], s[0:1]
	v_fma_f64 v[8:9], v[88:89], s[12:13], -v[8:9]
	v_add_f64 v[6:7], v[138:139], v[14:15]
	v_fma_f64 v[104:105], v[10:11], s[10:11], v[4:5]
	v_fma_f64 v[10:11], v[24:25], s[6:7], -v[102:103]
	v_mul_f64 v[24:25], v[16:17], s[18:19]
	v_fma_f64 v[16:17], v[26:27], s[22:23], -v[20:21]
	v_fma_f64 v[18:19], v[72:73], s[22:23], -v[22:23]
	;; [unrolled: 1-line block ×3, first 2 shown]
	v_fma_f64 v[26:27], v[26:27], s[16:17], v[102:103]
	v_fma_f64 v[72:73], v[72:73], s[16:17], v[98:99]
	;; [unrolled: 1-line block ×3, first 2 shown]
	v_fma_f64 v[12:13], v[92:93], s[12:13], -v[12:13]
	v_fma_f64 v[106:107], v[14:15], s[10:11], v[6:7]
	v_add_f64 v[110:111], v[8:9], v[104:105]
	v_fma_f64 v[14:15], v[100:101], s[2:3], v[10:11]
	v_fma_f64 v[20:21], v[88:89], s[20:21], -v[24:25]
	v_fma_f64 v[10:11], v[80:81], s[6:7], -v[98:99]
	v_fma_f64 v[80:81], v[100:101], s[2:3], v[16:17]
	v_fma_f64 v[82:83], v[96:97], s[2:3], v[18:19]
	;; [unrolled: 1-line block ×4, first 2 shown]
	v_add_f64 v[22:23], v[22:23], v[106:107]
	v_add_f64 v[74:75], v[74:75], v[106:107]
	;; [unrolled: 1-line block ×4, first 2 shown]
	v_fma_f64 v[108:109], v[96:97], s[2:3], v[10:11]
	v_add_f64 v[18:19], v[22:23], -v[80:81]
	v_add_f64 v[22:23], v[80:81], v[22:23]
	v_fma_f64 v[80:81], v[100:101], s[2:3], v[26:27]
	v_add_f64 v[16:17], v[82:83], v[20:21]
	v_add_f64 v[20:21], v[20:21], -v[82:83]
	v_add_f64 v[82:83], v[24:25], v[104:105]
	v_add_f64 v[8:9], v[110:111], -v[108:109]
	v_add_f64 v[10:11], v[14:15], v[112:113]
	v_add_f64 v[12:13], v[108:109], v[110:111]
	v_add_f64 v[14:15], v[112:113], -v[14:15]
	v_add_f64 v[26:27], v[74:75], -v[80:81]
	v_add_f64 v[74:75], v[80:81], v[74:75]
	v_lshrrev_b32_e32 v80, 2, v163
	v_add_f64 v[24:25], v[72:73], v[82:83]
	v_add_f64 v[72:73], v[82:83], -v[72:73]
	s_delay_alu instid0(VALU_DEP_3) | instskip(NEXT) | instid1(VALU_DEP_1)
	v_mul_lo_u32 v80, v80, 28
	v_or_b32_e32 v80, v80, v155
	s_delay_alu instid0(VALU_DEP_1)
	v_lshl_add_u32 v80, v80, 4, 0
	ds_store_b128 v80, v[4:7]
	ds_store_b128 v80, v[24:27] offset:64
	ds_store_b128 v80, v[16:19] offset:128
	;; [unrolled: 1-line block ×6, first 2 shown]
	v_add_f64 v[16:17], v[50:51], v[86:87]
	v_add_f64 v[8:9], v[58:59], v[78:79]
	v_add_f64 v[18:19], v[66:67], v[70:71]
	v_add_f64 v[20:21], v[48:49], v[84:85]
	v_add_f64 v[12:13], v[56:57], v[76:77]
	v_add_f64 v[22:23], v[64:65], v[68:69]
	v_add_f64 v[24:25], v[58:59], -v[78:79]
	v_add_f64 v[26:27], v[70:71], -v[66:67]
	;; [unrolled: 1-line block ×6, first 2 shown]
	v_add_f64 v[4:5], v[8:9], v[16:17]
	v_add_f64 v[64:65], v[8:9], -v[16:17]
	v_add_f64 v[66:67], v[18:19], -v[8:9]
	;; [unrolled: 1-line block ×5, first 2 shown]
	v_add_f64 v[8:9], v[26:27], v[24:25]
	v_add_f64 v[72:73], v[58:59], v[56:57]
	v_add_f64 v[74:75], v[58:59], -v[56:57]
	v_add_f64 v[56:57], v[56:57], -v[48:49]
	v_add_f64 v[10:11], v[18:19], v[4:5]
	v_add_f64 v[4:5], v[12:13], v[20:21]
	v_add_f64 v[12:13], v[26:27], -v[24:25]
	v_add_f64 v[24:25], v[24:25], -v[50:51]
	;; [unrolled: 1-line block ×4, first 2 shown]
	v_add_f64 v[76:77], v[8:9], v[50:51]
	v_mul_f64 v[8:9], v[66:67], s[0:1]
	v_add_f64 v[72:73], v[72:73], v[48:49]
	v_add_f64 v[48:49], v[48:49], -v[58:59]
	v_mul_f64 v[74:75], v[74:75], s[14:15]
	v_add_f64 v[14:15], v[22:23], v[4:5]
	v_add_f64 v[4:5], v[140:141], v[10:11]
	v_mul_f64 v[78:79], v[12:13], s[14:15]
	v_mul_f64 v[20:21], v[24:25], s[6:7]
	;; [unrolled: 1-line block ×5, first 2 shown]
	v_fma_f64 v[8:9], v[64:65], s[12:13], -v[8:9]
	v_add_f64 v[6:7], v[142:143], v[14:15]
	v_fma_f64 v[80:81], v[10:11], s[10:11], v[4:5]
	v_fma_f64 v[10:11], v[24:25], s[6:7], -v[78:79]
	v_mul_f64 v[24:25], v[16:17], s[18:19]
	v_fma_f64 v[16:17], v[26:27], s[22:23], -v[20:21]
	v_fma_f64 v[18:19], v[48:49], s[22:23], -v[22:23]
	;; [unrolled: 1-line block ×3, first 2 shown]
	v_fma_f64 v[26:27], v[26:27], s[16:17], v[78:79]
	v_fma_f64 v[48:49], v[48:49], s[16:17], v[74:75]
	;; [unrolled: 1-line block ×3, first 2 shown]
	v_fma_f64 v[12:13], v[68:69], s[12:13], -v[12:13]
	v_fma_f64 v[82:83], v[14:15], s[10:11], v[6:7]
	v_add_f64 v[86:87], v[8:9], v[80:81]
	v_fma_f64 v[14:15], v[76:77], s[2:3], v[10:11]
	v_fma_f64 v[20:21], v[64:65], s[20:21], -v[24:25]
	v_fma_f64 v[10:11], v[56:57], s[6:7], -v[74:75]
	v_fma_f64 v[56:57], v[76:77], s[2:3], v[16:17]
	v_fma_f64 v[58:59], v[72:73], s[2:3], v[18:19]
	;; [unrolled: 1-line block ×4, first 2 shown]
	v_add_f64 v[22:23], v[22:23], v[82:83]
	v_add_f64 v[50:51], v[50:51], v[82:83]
	;; [unrolled: 1-line block ×4, first 2 shown]
	v_fma_f64 v[84:85], v[72:73], s[2:3], v[10:11]
	v_add_f64 v[18:19], v[22:23], -v[56:57]
	v_add_f64 v[22:23], v[56:57], v[22:23]
	v_fma_f64 v[56:57], v[76:77], s[2:3], v[26:27]
	v_add_f64 v[16:17], v[58:59], v[20:21]
	v_add_f64 v[20:21], v[20:21], -v[58:59]
	v_add_f64 v[58:59], v[24:25], v[80:81]
	v_add_f64 v[8:9], v[86:87], -v[84:85]
	v_add_f64 v[10:11], v[14:15], v[88:89]
	v_add_f64 v[12:13], v[84:85], v[86:87]
	v_add_f64 v[14:15], v[88:89], -v[14:15]
	v_add_f64 v[26:27], v[50:51], -v[56:57]
	v_add_f64 v[50:51], v[56:57], v[50:51]
	v_lshrrev_b32_e32 v56, 2, v162
	v_add_f64 v[24:25], v[48:49], v[58:59]
	v_add_f64 v[48:49], v[58:59], -v[48:49]
	s_delay_alu instid0(VALU_DEP_3) | instskip(NEXT) | instid1(VALU_DEP_1)
	v_mul_lo_u32 v56, v56, 28
	v_or_b32_e32 v56, v56, v155
	s_delay_alu instid0(VALU_DEP_1)
	v_lshl_add_u32 v56, v56, 4, 0
	ds_store_b128 v56, v[4:7]
	ds_store_b128 v56, v[24:27] offset:64
	ds_store_b128 v56, v[16:19] offset:128
	;; [unrolled: 1-line block ×6, first 2 shown]
	v_add_f64 v[4:5], v[34:35], v[62:63]
	v_add_f64 v[6:7], v[38:39], v[54:55]
	;; [unrolled: 1-line block ×6, first 2 shown]
	v_add_f64 v[18:19], v[38:39], -v[54:55]
	v_add_f64 v[26:27], v[46:47], -v[42:43]
	;; [unrolled: 1-line block ×3, first 2 shown]
	v_add_f64 v[8:9], v[6:7], v[4:5]
	v_add_f64 v[38:39], v[14:15], -v[22:23]
	s_delay_alu instid0(VALU_DEP_4) | instskip(NEXT) | instid1(VALU_DEP_3)
	v_add_f64 v[42:43], v[26:27], -v[18:19]
	v_add_f64 v[12:13], v[20:21], v[8:9]
	v_add_f64 v[8:9], v[14:15], v[22:23]
	s_delay_alu instid0(VALU_DEP_3) | instskip(NEXT) | instid1(VALU_DEP_2)
	v_mul_f64 v[42:43], v[42:43], s[14:15]
	v_add_f64 v[16:17], v[24:25], v[8:9]
	s_delay_alu instid0(VALU_DEP_4)
	v_add_f64 v[8:9], v[28:29], v[12:13]
	v_add_f64 v[28:29], v[34:35], -v[62:63]
	v_add_f64 v[34:35], v[44:45], -v[40:41]
	;; [unrolled: 1-line block ×3, first 2 shown]
	v_add_f64 v[14:15], v[26:27], v[18:19]
	v_add_f64 v[10:11], v[30:31], v[16:17]
	v_add_f64 v[30:31], v[36:37], -v[52:53]
	v_add_f64 v[44:45], v[18:19], -v[28:29]
	;; [unrolled: 1-line block ×4, first 2 shown]
	v_add_f64 v[48:49], v[14:15], v[28:29]
	v_fma_f64 v[52:53], v[12:13], s[10:11], v[8:9]
	v_add_f64 v[4:5], v[4:5], -v[20:21]
	v_add_f64 v[20:21], v[22:23], -v[24:25]
	v_add_f64 v[28:29], v[28:29], -v[26:27]
	v_fma_f64 v[54:55], v[16:17], s[10:11], v[10:11]
	v_add_f64 v[46:47], v[34:35], -v[30:31]
	v_add_f64 v[18:19], v[34:35], v[30:31]
	v_add_f64 v[30:31], v[30:31], -v[32:33]
	v_fma_f64 v[12:13], v[44:45], s[6:7], -v[42:43]
	v_mul_f64 v[22:23], v[44:45], s[6:7]
	v_mul_f64 v[14:15], v[6:7], s[0:1]
	;; [unrolled: 1-line block ×4, first 2 shown]
	v_add_f64 v[50:51], v[18:19], v[32:33]
	v_mul_f64 v[24:25], v[30:31], s[6:7]
	v_fma_f64 v[56:57], v[48:49], s[2:3], v[12:13]
	v_add_f64 v[32:33], v[32:33], -v[34:35]
	v_mul_f64 v[18:19], v[40:41], s[0:1]
	v_fma_f64 v[14:15], v[36:37], s[12:13], -v[14:15]
	v_fma_f64 v[12:13], v[30:31], s[6:7], -v[46:47]
	v_mul_f64 v[30:31], v[20:21], s[18:19]
	v_fma_f64 v[20:21], v[28:29], s[22:23], -v[22:23]
	v_fma_f64 v[28:29], v[28:29], s[16:17], v[42:43]
	v_fma_f64 v[22:23], v[32:33], s[22:23], -v[24:25]
	v_fma_f64 v[24:25], v[36:37], s[20:21], -v[4:5]
	v_fma_f64 v[32:33], v[32:33], s[16:17], v[46:47]
	v_fma_f64 v[4:5], v[6:7], s[0:1], v[4:5]
	v_fma_f64 v[18:19], v[38:39], s[12:13], -v[18:19]
	v_add_f64 v[58:59], v[14:15], v[52:53]
	v_fma_f64 v[16:17], v[50:51], s[2:3], v[12:13]
	v_fma_f64 v[26:27], v[38:39], s[20:21], -v[30:31]
	v_fma_f64 v[34:35], v[48:49], s[2:3], v[20:21]
	v_fma_f64 v[6:7], v[40:41], s[0:1], v[30:31]
	;; [unrolled: 1-line block ×3, first 2 shown]
	v_add_f64 v[24:25], v[24:25], v[52:53]
	v_fma_f64 v[32:33], v[50:51], s[2:3], v[32:33]
	v_add_f64 v[4:5], v[4:5], v[52:53]
	v_add_f64 v[18:19], v[18:19], v[54:55]
	v_cmp_gt_u32_e64 s0, 28, v144
	v_add_f64 v[12:13], v[58:59], -v[16:17]
	v_add_f64 v[26:27], v[26:27], v[54:55]
	v_add_f64 v[16:17], v[16:17], v[58:59]
	;; [unrolled: 1-line block ×4, first 2 shown]
	v_add_f64 v[24:25], v[24:25], -v[36:37]
	v_add_f64 v[14:15], v[56:57], v[18:19]
	v_add_f64 v[18:19], v[18:19], -v[56:57]
	v_add_f64 v[22:23], v[26:27], -v[34:35]
	v_add_f64 v[26:27], v[34:35], v[26:27]
	v_fma_f64 v[34:35], v[48:49], s[2:3], v[28:29]
	v_add_f64 v[28:29], v[32:33], v[4:5]
	v_add_f64 v[4:5], v[4:5], -v[32:33]
	v_lshrrev_b32_e32 v32, 2, v161
	s_delay_alu instid0(VALU_DEP_1) | instskip(NEXT) | instid1(VALU_DEP_1)
	v_mul_lo_u32 v32, v32, 28
	v_or_b32_e32 v32, v32, v155
	s_delay_alu instid0(VALU_DEP_1)
	v_lshl_add_u32 v32, v32, 4, 0
	v_add_f64 v[30:31], v[6:7], -v[34:35]
	v_add_f64 v[6:7], v[34:35], v[6:7]
	ds_store_b128 v32, v[8:11]
	ds_store_b128 v32, v[28:31] offset:64
	ds_store_b128 v32, v[20:23] offset:128
	;; [unrolled: 1-line block ×6, first 2 shown]
	v_lshl_add_u32 v8, v158, 4, 0
	s_waitcnt lgkmcnt(0)
	s_barrier
	buffer_gl0_inv
	ds_load_b128 v[48:51], v164
	ds_load_b128 v[68:71], v215
	;; [unrolled: 1-line block ×3, first 2 shown]
	ds_load_b128 v[136:139], v214 offset:16576
	ds_load_b128 v[132:135], v214 offset:17472
	ds_load_b128 v[60:63], v149
	ds_load_b128 v[56:59], v147
	ds_load_b128 v[128:131], v214 offset:18368
	ds_load_b128 v[124:127], v214 offset:19264
	;; [unrolled: 1-line block ×4, first 2 shown]
	ds_load_b128 v[52:55], v218
	ds_load_b128 v[44:47], v8
	;; [unrolled: 1-line block ×3, first 2 shown]
	ds_load_b128 v[112:115], v214 offset:21952
	ds_load_b128 v[104:107], v214 offset:22848
	ds_load_b128 v[72:75], v214
	ds_load_b128 v[36:39], v214 offset:8064
	ds_load_b128 v[100:103], v214 offset:23744
	;; [unrolled: 1-line block ×17, first 2 shown]
	s_and_saveexec_b32 s1, s0
	s_cbranch_execz .LBB0_17
; %bb.16:
	ds_load_b128 v[4:7], v214 offset:15232
	ds_load_b128 v[0:3], v214 offset:30912
.LBB0_17:
	s_or_b32 exec_lo, exec_lo, s1
	v_subrev_nc_u32_e32 v152, 28, v144
	s_delay_alu instid0(VALU_DEP_1) | instskip(SKIP_1) | instid1(VALU_DEP_1)
	v_cndmask_b32_e64 v164, v152, v144, s0
	v_lshrrev_b16 v152, 2, v154
	v_dual_mov_b32 v165, 0 :: v_dual_and_b32 v152, 63, v152
	s_delay_alu instid0(VALU_DEP_1) | instskip(NEXT) | instid1(VALU_DEP_2)
	v_lshlrev_b64 v[166:167], 4, v[164:165]
	v_mul_lo_u16 v152, v152, 37
	s_delay_alu instid0(VALU_DEP_2) | instskip(NEXT) | instid1(VALU_DEP_1)
	v_add_co_u32 v166, s1, s4, v166
	v_add_co_ci_u32_e64 v167, s1, s5, v167, s1
	s_delay_alu instid0(VALU_DEP_3) | instskip(SKIP_1) | instid1(VALU_DEP_2)
	v_lshrrev_b16 v155, 8, v152
	v_cmp_lt_u32_e64 s1, 27, v144
	v_mul_lo_u16 v152, v155, 28
	s_delay_alu instid0(VALU_DEP_1) | instskip(NEXT) | instid1(VALU_DEP_1)
	v_sub_nc_u16 v152, v154, v152
	v_and_b32_e32 v152, 0xff, v152
	s_delay_alu instid0(VALU_DEP_1)
	v_lshlrev_b32_e32 v168, 4, v152
	s_clause 0x1
	global_load_b128 v[169:172], v[166:167], off offset:384
	global_load_b128 v[173:176], v168, s[4:5] offset:384
	s_waitcnt vmcnt(1) lgkmcnt(3)
	v_mul_f64 v[166:167], v[142:143], v[171:172]
	s_delay_alu instid0(VALU_DEP_1) | instskip(SKIP_1) | instid1(VALU_DEP_1)
	v_fma_f64 v[166:167], v[140:141], v[169:170], v[166:167]
	v_mul_f64 v[140:141], v[140:141], v[171:172]
	v_fma_f64 v[142:143], v[142:143], v[169:170], -v[140:141]
	s_waitcnt vmcnt(0)
	v_mul_f64 v[140:141], v[138:139], v[175:176]
	s_delay_alu instid0(VALU_DEP_1) | instskip(SKIP_1) | instid1(VALU_DEP_1)
	v_fma_f64 v[140:141], v[136:137], v[173:174], v[140:141]
	v_mul_f64 v[136:137], v[136:137], v[175:176]
	v_fma_f64 v[136:137], v[138:139], v[173:174], -v[136:137]
	v_lshrrev_b16 v138, 2, v163
	v_lshrrev_b16 v139, 2, v162
	s_delay_alu instid0(VALU_DEP_2) | instskip(NEXT) | instid1(VALU_DEP_2)
	v_and_b32_e32 v138, 63, v138
	v_and_b32_e32 v139, 63, v139
	s_delay_alu instid0(VALU_DEP_2) | instskip(NEXT) | instid1(VALU_DEP_2)
	v_mul_lo_u16 v138, v138, 37
	v_mul_lo_u16 v139, v139, 37
	s_delay_alu instid0(VALU_DEP_2) | instskip(NEXT) | instid1(VALU_DEP_2)
	v_lshrrev_b16 v171, 8, v138
	v_lshrrev_b16 v169, 8, v139
	s_delay_alu instid0(VALU_DEP_2) | instskip(NEXT) | instid1(VALU_DEP_2)
	v_mul_lo_u16 v138, v171, 28
	v_mul_lo_u16 v139, v169, 28
	s_delay_alu instid0(VALU_DEP_2) | instskip(NEXT) | instid1(VALU_DEP_2)
	v_sub_nc_u16 v138, v163, v138
	v_sub_nc_u16 v139, v162, v139
	s_delay_alu instid0(VALU_DEP_2) | instskip(NEXT) | instid1(VALU_DEP_2)
	v_and_b32_e32 v138, 0xff, v138
	v_and_b32_e32 v139, 0xff, v139
	s_delay_alu instid0(VALU_DEP_2) | instskip(NEXT) | instid1(VALU_DEP_2)
	v_lshlrev_b32_e32 v172, 4, v138
	v_lshlrev_b32_e32 v170, 4, v139
	s_clause 0x1
	global_load_b128 v[173:176], v172, s[4:5] offset:384
	global_load_b128 v[177:180], v170, s[4:5] offset:384
	s_waitcnt vmcnt(1)
	v_mul_f64 v[138:139], v[134:135], v[175:176]
	s_delay_alu instid0(VALU_DEP_1) | instskip(SKIP_1) | instid1(VALU_DEP_1)
	v_fma_f64 v[138:139], v[132:133], v[173:174], v[138:139]
	v_mul_f64 v[132:133], v[132:133], v[175:176]
	v_fma_f64 v[132:133], v[134:135], v[173:174], -v[132:133]
	s_waitcnt vmcnt(0)
	v_mul_f64 v[134:135], v[130:131], v[179:180]
	s_delay_alu instid0(VALU_DEP_1) | instskip(SKIP_1) | instid1(VALU_DEP_1)
	v_fma_f64 v[134:135], v[128:129], v[177:178], v[134:135]
	v_mul_f64 v[128:129], v[128:129], v[179:180]
	v_fma_f64 v[128:129], v[130:131], v[177:178], -v[128:129]
	v_lshrrev_b16 v130, 2, v161
	v_lshrrev_b16 v131, 2, v160
	s_delay_alu instid0(VALU_DEP_2) | instskip(NEXT) | instid1(VALU_DEP_2)
	v_and_b32_e32 v130, 0xffff, v130
	v_and_b32_e32 v131, 0xffff, v131
	s_delay_alu instid0(VALU_DEP_2) | instskip(NEXT) | instid1(VALU_DEP_2)
	v_mul_u32_u24_e32 v130, 0x4925, v130
	v_mul_u32_u24_e32 v131, 0x4925, v131
	s_delay_alu instid0(VALU_DEP_2) | instskip(NEXT) | instid1(VALU_DEP_2)
	v_lshrrev_b32_e32 v174, 17, v130
	v_lshrrev_b32_e32 v173, 17, v131
	s_delay_alu instid0(VALU_DEP_2) | instskip(NEXT) | instid1(VALU_DEP_2)
	v_mul_lo_u16 v130, v174, 28
	v_mul_lo_u16 v131, v173, 28
	s_delay_alu instid0(VALU_DEP_2) | instskip(NEXT) | instid1(VALU_DEP_2)
	v_sub_nc_u16 v130, v161, v130
	v_sub_nc_u16 v131, v160, v131
	s_delay_alu instid0(VALU_DEP_2) | instskip(NEXT) | instid1(VALU_DEP_2)
	v_and_b32_e32 v130, 0xffff, v130
	v_and_b32_e32 v131, 0xffff, v131
	s_delay_alu instid0(VALU_DEP_2) | instskip(NEXT) | instid1(VALU_DEP_2)
	v_lshlrev_b32_e32 v176, 4, v130
	v_lshlrev_b32_e32 v175, 4, v131
	s_clause 0x1
	global_load_b128 v[177:180], v176, s[4:5] offset:384
	global_load_b128 v[181:184], v175, s[4:5] offset:384
	s_waitcnt vmcnt(1)
	v_mul_f64 v[130:131], v[126:127], v[179:180]
	s_delay_alu instid0(VALU_DEP_1) | instskip(SKIP_1) | instid1(VALU_DEP_1)
	v_fma_f64 v[130:131], v[124:125], v[177:178], v[130:131]
	v_mul_f64 v[124:125], v[124:125], v[179:180]
	v_fma_f64 v[126:127], v[126:127], v[177:178], -v[124:125]
	s_waitcnt vmcnt(0)
	v_mul_f64 v[124:125], v[122:123], v[183:184]
	s_delay_alu instid0(VALU_DEP_1) | instskip(SKIP_1) | instid1(VALU_DEP_1)
	v_fma_f64 v[124:125], v[120:121], v[181:182], v[124:125]
	v_mul_f64 v[120:121], v[120:121], v[183:184]
	v_fma_f64 v[120:121], v[122:123], v[181:182], -v[120:121]
	v_lshrrev_b16 v122, 2, v159
	v_lshrrev_b16 v123, 2, v158
	s_delay_alu instid0(VALU_DEP_2) | instskip(NEXT) | instid1(VALU_DEP_2)
	v_and_b32_e32 v122, 0xffff, v122
	v_and_b32_e32 v123, 0xffff, v123
	s_delay_alu instid0(VALU_DEP_2) | instskip(NEXT) | instid1(VALU_DEP_2)
	v_mul_u32_u24_e32 v122, 0x4925, v122
	v_mul_u32_u24_e32 v123, 0x4925, v123
	s_delay_alu instid0(VALU_DEP_2) | instskip(NEXT) | instid1(VALU_DEP_2)
	v_lshrrev_b32_e32 v178, 17, v122
	v_lshrrev_b32_e32 v177, 17, v123
	s_delay_alu instid0(VALU_DEP_2) | instskip(NEXT) | instid1(VALU_DEP_2)
	v_mul_lo_u16 v122, v178, 28
	v_mul_lo_u16 v123, v177, 28
	s_delay_alu instid0(VALU_DEP_2) | instskip(NEXT) | instid1(VALU_DEP_2)
	v_sub_nc_u16 v122, v159, v122
	v_sub_nc_u16 v123, v158, v123
	s_delay_alu instid0(VALU_DEP_2) | instskip(NEXT) | instid1(VALU_DEP_2)
	v_and_b32_e32 v122, 0xffff, v122
	v_and_b32_e32 v123, 0xffff, v123
	s_delay_alu instid0(VALU_DEP_2) | instskip(NEXT) | instid1(VALU_DEP_2)
	v_lshlrev_b32_e32 v180, 4, v122
	v_lshlrev_b32_e32 v179, 4, v123
	s_clause 0x1
	global_load_b128 v[181:184], v180, s[4:5] offset:384
	global_load_b128 v[185:188], v179, s[4:5] offset:384
	s_waitcnt vmcnt(1)
	v_mul_f64 v[122:123], v[118:119], v[183:184]
	s_delay_alu instid0(VALU_DEP_1) | instskip(SKIP_1) | instid1(VALU_DEP_1)
	v_fma_f64 v[122:123], v[116:117], v[181:182], v[122:123]
	v_mul_f64 v[116:117], v[116:117], v[183:184]
	v_fma_f64 v[118:119], v[118:119], v[181:182], -v[116:117]
	s_waitcnt vmcnt(0)
	v_mul_f64 v[116:117], v[114:115], v[187:188]
	s_delay_alu instid0(VALU_DEP_1) | instskip(SKIP_1) | instid1(VALU_DEP_1)
	v_fma_f64 v[116:117], v[112:113], v[185:186], v[116:117]
	v_mul_f64 v[112:113], v[112:113], v[187:188]
	v_fma_f64 v[113:114], v[114:115], v[185:186], -v[112:113]
	v_lshrrev_b16 v112, 2, v157
	s_delay_alu instid0(VALU_DEP_1) | instskip(SKIP_1) | instid1(VALU_DEP_2)
	v_and_b32_e32 v115, 0xffff, v112
	v_add_nc_u32_e32 v112, 0x1f8, v144
	v_mul_u32_u24_e32 v115, 0x4925, v115
	s_delay_alu instid0(VALU_DEP_2) | instskip(NEXT) | instid1(VALU_DEP_2)
	v_lshrrev_b16 v152, 2, v112
	v_lshrrev_b32_e32 v115, 17, v115
	s_delay_alu instid0(VALU_DEP_2) | instskip(NEXT) | instid1(VALU_DEP_2)
	v_and_b32_e32 v152, 0xffff, v152
	v_mul_lo_u16 v153, v115, 28
	s_delay_alu instid0(VALU_DEP_2) | instskip(NEXT) | instid1(VALU_DEP_2)
	v_mul_u32_u24_e32 v152, 0x4925, v152
	v_sub_nc_u16 v153, v157, v153
	s_delay_alu instid0(VALU_DEP_2) | instskip(NEXT) | instid1(VALU_DEP_2)
	v_lshrrev_b32_e32 v152, 17, v152
	v_and_b32_e32 v153, 0xffff, v153
	s_delay_alu instid0(VALU_DEP_2) | instskip(NEXT) | instid1(VALU_DEP_2)
	v_mul_lo_u16 v181, v152, 28
	v_lshlrev_b32_e32 v153, 4, v153
	s_delay_alu instid0(VALU_DEP_2) | instskip(NEXT) | instid1(VALU_DEP_1)
	v_sub_nc_u16 v181, v112, v181
	v_and_b32_e32 v181, 0xffff, v181
	s_delay_alu instid0(VALU_DEP_1)
	v_lshlrev_b32_e32 v197, 4, v181
	s_clause 0x1
	global_load_b128 v[181:184], v153, s[4:5] offset:384
	global_load_b128 v[185:188], v197, s[4:5] offset:384
	s_waitcnt vmcnt(1)
	v_mul_f64 v[189:190], v[106:107], v[183:184]
	s_delay_alu instid0(VALU_DEP_1) | instskip(SKIP_1) | instid1(VALU_DEP_1)
	v_fma_f64 v[189:190], v[104:105], v[181:182], v[189:190]
	v_mul_f64 v[104:105], v[104:105], v[183:184]
	v_fma_f64 v[181:182], v[106:107], v[181:182], -v[104:105]
	v_lshrrev_b16 v104, 2, v156
	s_delay_alu instid0(VALU_DEP_1) | instskip(NEXT) | instid1(VALU_DEP_1)
	v_and_b32_e32 v104, 0xffff, v104
	v_mul_u32_u24_e32 v104, 0x4925, v104
	s_delay_alu instid0(VALU_DEP_1) | instskip(NEXT) | instid1(VALU_DEP_1)
	v_lshrrev_b32_e32 v198, 17, v104
	v_mul_lo_u16 v104, v198, 28
	s_delay_alu instid0(VALU_DEP_1) | instskip(NEXT) | instid1(VALU_DEP_1)
	v_sub_nc_u16 v104, v156, v104
	v_and_b32_e32 v104, 0xffff, v104
	s_delay_alu instid0(VALU_DEP_1) | instskip(SKIP_4) | instid1(VALU_DEP_2)
	v_lshlrev_b32_e32 v199, 4, v104
	global_load_b128 v[104:107], v199, s[4:5] offset:384
	s_waitcnt vmcnt(0) lgkmcnt(0)
	v_mul_f64 v[183:184], v[110:111], v[106:107]
	v_mul_f64 v[106:107], v[108:109], v[106:107]
	v_fma_f64 v[183:184], v[108:109], v[104:105], v[183:184]
	s_delay_alu instid0(VALU_DEP_2) | instskip(SKIP_1) | instid1(VALU_DEP_1)
	v_fma_f64 v[110:111], v[110:111], v[104:105], -v[106:107]
	v_mul_f64 v[104:105], v[102:103], v[187:188]
	v_fma_f64 v[191:192], v[100:101], v[185:186], v[104:105]
	v_mul_f64 v[100:101], v[100:101], v[187:188]
	s_delay_alu instid0(VALU_DEP_1) | instskip(SKIP_1) | instid1(VALU_DEP_1)
	v_fma_f64 v[185:186], v[102:103], v[185:186], -v[100:101]
	v_add_nc_u32_e32 v101, 0x230, v144
	v_lshrrev_b16 v100, 2, v101
	s_delay_alu instid0(VALU_DEP_1) | instskip(SKIP_1) | instid1(VALU_DEP_2)
	v_and_b32_e32 v102, 0xffff, v100
	v_add_nc_u32_e32 v100, 0x268, v144
	v_mul_u32_u24_e32 v102, 0x4925, v102
	s_delay_alu instid0(VALU_DEP_2) | instskip(NEXT) | instid1(VALU_DEP_2)
	v_lshrrev_b16 v103, 2, v100
	v_lshrrev_b32_e32 v200, 17, v102
	s_delay_alu instid0(VALU_DEP_2) | instskip(NEXT) | instid1(VALU_DEP_2)
	v_and_b32_e32 v103, 0xffff, v103
	v_mul_lo_u16 v102, v200, 28
	s_delay_alu instid0(VALU_DEP_2) | instskip(NEXT) | instid1(VALU_DEP_2)
	v_mul_u32_u24_e32 v103, 0x4925, v103
	v_sub_nc_u16 v102, v101, v102
	s_delay_alu instid0(VALU_DEP_2) | instskip(NEXT) | instid1(VALU_DEP_2)
	v_lshrrev_b32_e32 v201, 17, v103
	v_and_b32_e32 v102, 0xffff, v102
	s_delay_alu instid0(VALU_DEP_2) | instskip(NEXT) | instid1(VALU_DEP_2)
	v_mul_lo_u16 v103, v201, 28
	v_lshlrev_b32_e32 v202, 4, v102
	s_delay_alu instid0(VALU_DEP_2) | instskip(NEXT) | instid1(VALU_DEP_1)
	v_sub_nc_u16 v103, v100, v103
	v_and_b32_e32 v103, 0xffff, v103
	s_delay_alu instid0(VALU_DEP_1)
	v_lshlrev_b32_e32 v203, 4, v103
	s_clause 0x1
	global_load_b128 v[102:105], v202, s[4:5] offset:384
	global_load_b128 v[106:109], v203, s[4:5] offset:384
	s_waitcnt vmcnt(1)
	v_mul_f64 v[187:188], v[98:99], v[104:105]
	s_delay_alu instid0(VALU_DEP_1) | instskip(SKIP_1) | instid1(VALU_DEP_1)
	v_fma_f64 v[187:188], v[96:97], v[102:103], v[187:188]
	v_mul_f64 v[96:97], v[96:97], v[104:105]
	v_fma_f64 v[98:99], v[98:99], v[102:103], -v[96:97]
	s_waitcnt vmcnt(0)
	v_mul_f64 v[96:97], v[94:95], v[108:109]
	s_delay_alu instid0(VALU_DEP_1) | instskip(SKIP_1) | instid1(VALU_DEP_1)
	v_fma_f64 v[193:194], v[92:93], v[106:107], v[96:97]
	v_mul_f64 v[92:93], v[92:93], v[108:109]
	v_fma_f64 v[106:107], v[94:95], v[106:107], -v[92:93]
	v_add_nc_u32_e32 v93, 0x2a0, v144
	s_delay_alu instid0(VALU_DEP_1) | instskip(NEXT) | instid1(VALU_DEP_1)
	v_lshrrev_b16 v92, 2, v93
	v_and_b32_e32 v94, 0xffff, v92
	v_add_nc_u32_e32 v92, 0x2d8, v144
	s_delay_alu instid0(VALU_DEP_2) | instskip(NEXT) | instid1(VALU_DEP_2)
	v_mul_u32_u24_e32 v94, 0x4925, v94
	v_lshrrev_b16 v95, 2, v92
	s_delay_alu instid0(VALU_DEP_2) | instskip(NEXT) | instid1(VALU_DEP_2)
	v_lshrrev_b32_e32 v204, 17, v94
	v_and_b32_e32 v95, 0xffff, v95
	s_delay_alu instid0(VALU_DEP_2) | instskip(NEXT) | instid1(VALU_DEP_2)
	v_mul_lo_u16 v94, v204, 28
	v_mul_u32_u24_e32 v95, 0x4925, v95
	s_delay_alu instid0(VALU_DEP_2) | instskip(NEXT) | instid1(VALU_DEP_2)
	v_sub_nc_u16 v94, v93, v94
	v_lshrrev_b32_e32 v205, 17, v95
	s_delay_alu instid0(VALU_DEP_2) | instskip(NEXT) | instid1(VALU_DEP_2)
	v_and_b32_e32 v94, 0xffff, v94
	v_mul_lo_u16 v95, v205, 28
	s_delay_alu instid0(VALU_DEP_2) | instskip(NEXT) | instid1(VALU_DEP_2)
	v_lshlrev_b32_e32 v206, 4, v94
	v_sub_nc_u16 v95, v92, v95
	s_delay_alu instid0(VALU_DEP_1) | instskip(NEXT) | instid1(VALU_DEP_1)
	v_and_b32_e32 v95, 0xffff, v95
	v_lshlrev_b32_e32 v207, 4, v95
	s_clause 0x1
	global_load_b128 v[94:97], v206, s[4:5] offset:384
	global_load_b128 v[102:105], v207, s[4:5] offset:384
	s_waitcnt vmcnt(1)
	v_mul_f64 v[108:109], v[90:91], v[96:97]
	s_delay_alu instid0(VALU_DEP_1) | instskip(SKIP_1) | instid1(VALU_DEP_1)
	v_fma_f64 v[108:109], v[88:89], v[94:95], v[108:109]
	v_mul_f64 v[88:89], v[88:89], v[96:97]
	v_fma_f64 v[90:91], v[90:91], v[94:95], -v[88:89]
	s_waitcnt vmcnt(0)
	v_mul_f64 v[88:89], v[86:87], v[104:105]
	s_delay_alu instid0(VALU_DEP_1) | instskip(SKIP_1) | instid1(VALU_DEP_1)
	v_fma_f64 v[195:196], v[84:85], v[102:103], v[88:89]
	v_mul_f64 v[84:85], v[84:85], v[104:105]
	v_fma_f64 v[102:103], v[86:87], v[102:103], -v[84:85]
	v_add_nc_u32_e32 v85, 0x310, v144
	s_delay_alu instid0(VALU_DEP_1) | instskip(NEXT) | instid1(VALU_DEP_1)
	v_lshrrev_b16 v84, 2, v85
	v_and_b32_e32 v86, 0xffff, v84
	v_add_nc_u32_e32 v84, 0x348, v144
	s_delay_alu instid0(VALU_DEP_2) | instskip(NEXT) | instid1(VALU_DEP_2)
	v_mul_u32_u24_e32 v86, 0x4925, v86
	v_lshrrev_b16 v87, 2, v84
	s_delay_alu instid0(VALU_DEP_2) | instskip(NEXT) | instid1(VALU_DEP_2)
	v_lshrrev_b32_e32 v208, 17, v86
	v_and_b32_e32 v87, 0xffff, v87
	s_delay_alu instid0(VALU_DEP_2) | instskip(NEXT) | instid1(VALU_DEP_2)
	v_mul_lo_u16 v86, v208, 28
	v_mul_u32_u24_e32 v87, 0x4925, v87
	s_delay_alu instid0(VALU_DEP_2) | instskip(NEXT) | instid1(VALU_DEP_2)
	v_sub_nc_u16 v86, v85, v86
	v_lshrrev_b32_e32 v209, 17, v87
	s_delay_alu instid0(VALU_DEP_2) | instskip(NEXT) | instid1(VALU_DEP_2)
	v_and_b32_e32 v86, 0xffff, v86
	v_mul_lo_u16 v87, v209, 28
	s_delay_alu instid0(VALU_DEP_2) | instskip(NEXT) | instid1(VALU_DEP_2)
	v_lshlrev_b32_e32 v210, 4, v86
	v_sub_nc_u16 v87, v84, v87
	s_delay_alu instid0(VALU_DEP_1) | instskip(NEXT) | instid1(VALU_DEP_1)
	v_and_b32_e32 v87, 0xffff, v87
	v_lshlrev_b32_e32 v211, 4, v87
	s_clause 0x1
	global_load_b128 v[86:89], v210, s[4:5] offset:384
	global_load_b128 v[94:97], v211, s[4:5] offset:384
	s_waitcnt vmcnt(0)
	s_barrier
	buffer_gl0_inv
	v_mul_f64 v[104:105], v[78:79], v[88:89]
	s_delay_alu instid0(VALU_DEP_1) | instskip(SKIP_1) | instid1(VALU_DEP_1)
	v_fma_f64 v[104:105], v[76:77], v[86:87], v[104:105]
	v_mul_f64 v[76:77], v[76:77], v[88:89]
	v_fma_f64 v[86:87], v[78:79], v[86:87], -v[76:77]
	v_mul_f64 v[76:77], v[82:83], v[96:97]
	v_add_f64 v[78:79], v[74:75], -v[142:143]
	s_delay_alu instid0(VALU_DEP_2) | instskip(SKIP_1) | instid1(VALU_DEP_3)
	v_fma_f64 v[88:89], v[80:81], v[94:95], v[76:77]
	v_mul_f64 v[76:77], v[80:81], v[96:97]
	v_fma_f64 v[74:75], v[74:75], 2.0, -v[78:79]
	s_delay_alu instid0(VALU_DEP_2) | instskip(SKIP_4) | instid1(VALU_DEP_2)
	v_fma_f64 v[80:81], v[82:83], v[94:95], -v[76:77]
	v_add_f64 v[76:77], v[72:73], -v[166:167]
	v_cndmask_b32_e64 v82, 0, 0x380, s1
	v_lshlrev_b32_e32 v83, 4, v164
	v_lshlrev_b32_e32 v164, 2, v159
	v_add3_u32 v82, 0, v82, v83
	v_fma_f64 v[72:73], v[72:73], 2.0, -v[76:77]
	ds_store_b128 v82, v[76:79] offset:448
	ds_store_b128 v82, v[72:75]
	v_add_f64 v[72:73], v[68:69], -v[140:141]
	v_add_f64 v[74:75], v[70:71], -v[136:137]
	v_and_b32_e32 v76, 0xffff, v155
	s_delay_alu instid0(VALU_DEP_1) | instskip(NEXT) | instid1(VALU_DEP_1)
	v_mul_u32_u24_e32 v76, 0x380, v76
	v_add3_u32 v76, 0, v76, v168
	v_fma_f64 v[68:69], v[68:69], 2.0, -v[72:73]
	v_fma_f64 v[70:71], v[70:71], 2.0, -v[74:75]
	ds_store_b128 v76, v[72:75] offset:448
	ds_store_b128 v76, v[68:71]
	v_add_f64 v[68:69], v[64:65], -v[138:139]
	v_add_f64 v[70:71], v[66:67], -v[132:133]
	v_and_b32_e32 v72, 0xffff, v171
	s_delay_alu instid0(VALU_DEP_1) | instskip(NEXT) | instid1(VALU_DEP_1)
	v_mul_u32_u24_e32 v72, 0x380, v72
	v_add3_u32 v72, 0, v72, v172
	v_fma_f64 v[64:65], v[64:65], 2.0, -v[68:69]
	v_fma_f64 v[66:67], v[66:67], 2.0, -v[70:71]
	ds_store_b128 v72, v[64:67]
	ds_store_b128 v72, v[68:71] offset:448
	v_add_f64 v[64:65], v[60:61], -v[134:135]
	v_add_f64 v[66:67], v[62:63], -v[128:129]
	v_and_b32_e32 v68, 0xffff, v169
	s_delay_alu instid0(VALU_DEP_1) | instskip(NEXT) | instid1(VALU_DEP_1)
	v_mul_u32_u24_e32 v68, 0x380, v68
	v_add3_u32 v68, 0, v68, v170
	v_fma_f64 v[60:61], v[60:61], 2.0, -v[64:65]
	v_fma_f64 v[62:63], v[62:63], 2.0, -v[66:67]
	ds_store_b128 v68, v[60:63]
	ds_store_b128 v68, v[64:67] offset:448
	v_add_f64 v[60:61], v[56:57], -v[130:131]
	v_add_f64 v[62:63], v[58:59], -v[126:127]
	v_mul_u32_u24_e32 v64, 0x380, v174
	s_delay_alu instid0(VALU_DEP_1) | instskip(NEXT) | instid1(VALU_DEP_4)
	v_add3_u32 v64, 0, v64, v176
	v_fma_f64 v[56:57], v[56:57], 2.0, -v[60:61]
	s_delay_alu instid0(VALU_DEP_4)
	v_fma_f64 v[58:59], v[58:59], 2.0, -v[62:63]
	ds_store_b128 v64, v[56:59]
	ds_store_b128 v64, v[60:63] offset:448
	v_add_f64 v[56:57], v[48:49], -v[124:125]
	v_add_f64 v[58:59], v[50:51], -v[120:121]
	v_mul_u32_u24_e32 v60, 0x380, v173
	s_delay_alu instid0(VALU_DEP_1) | instskip(NEXT) | instid1(VALU_DEP_4)
	v_add3_u32 v60, 0, v60, v175
	v_fma_f64 v[48:49], v[48:49], 2.0, -v[56:57]
	s_delay_alu instid0(VALU_DEP_4)
	;; [unrolled: 10-line block ×6, first 2 shown]
	v_fma_f64 v[38:39], v[38:39], 2.0, -v[42:43]
	ds_store_b128 v44, v[40:43] offset:448
	ds_store_b128 v44, v[36:39]
	v_add_f64 v[36:37], v[32:33], -v[187:188]
	v_add_f64 v[38:39], v[34:35], -v[98:99]
	v_mul_u32_u24_e32 v40, 0x380, v200
	s_delay_alu instid0(VALU_DEP_1) | instskip(NEXT) | instid1(VALU_DEP_4)
	v_add3_u32 v40, 0, v40, v202
	v_fma_f64 v[32:33], v[32:33], 2.0, -v[36:37]
	s_delay_alu instid0(VALU_DEP_4)
	v_fma_f64 v[34:35], v[34:35], 2.0, -v[38:39]
	ds_store_b128 v40, v[32:35]
	ds_store_b128 v40, v[36:39] offset:448
	v_add_f64 v[32:33], v[28:29], -v[193:194]
	v_add_f64 v[34:35], v[30:31], -v[106:107]
	v_mul_u32_u24_e32 v36, 0x380, v201
	s_delay_alu instid0(VALU_DEP_1) | instskip(NEXT) | instid1(VALU_DEP_4)
	v_add3_u32 v36, 0, v36, v203
	v_fma_f64 v[28:29], v[28:29], 2.0, -v[32:33]
	s_delay_alu instid0(VALU_DEP_4)
	v_fma_f64 v[30:31], v[30:31], 2.0, -v[34:35]
	ds_store_b128 v36, v[28:31]
	ds_store_b128 v36, v[32:35] offset:448
	;; [unrolled: 10-line block ×5, first 2 shown]
	v_add_f64 v[16:17], v[12:13], -v[88:89]
	v_add_f64 v[18:19], v[14:15], -v[80:81]
	v_mul_u32_u24_e32 v20, 0x380, v209
	v_lshlrev_b32_e32 v21, 2, v154
	s_delay_alu instid0(VALU_DEP_2)
	v_add3_u32 v20, 0, v20, v211
	v_fma_f64 v[12:13], v[12:13], 2.0, -v[16:17]
	v_fma_f64 v[14:15], v[14:15], 2.0, -v[18:19]
	ds_store_b128 v20, v[12:15]
	ds_store_b128 v20, v[16:19] offset:448
	v_add_f64 v[12:13], v[8:9], -v[183:184]
	v_add_f64 v[14:15], v[10:11], -v[110:111]
	v_mul_u32_u24_e32 v16, 0x380, v198
	v_lshlrev_b32_e32 v20, 2, v163
	v_lshlrev_b32_e32 v19, 2, v162
	v_lshlrev_b32_e32 v18, 2, v161
	v_lshlrev_b32_e32 v17, 2, v160
	v_add3_u32 v16, 0, v16, v199
	v_fma_f64 v[8:9], v[8:9], 2.0, -v[12:13]
	v_fma_f64 v[10:11], v[10:11], 2.0, -v[14:15]
	ds_store_b128 v16, v[8:11]
	ds_store_b128 v16, v[12:15] offset:448
	v_mul_i32_i24_e32 v8, 0xffffffd0, v160
	v_lshlrev_b32_e32 v12, 2, v144
	v_add_nc_u32_e32 v16, 0x3b8, v144
	s_and_saveexec_b32 s1, s0
	s_cbranch_execz .LBB0_19
; %bb.18:
	s_delay_alu instid0(VALU_DEP_1) | instskip(NEXT) | instid1(VALU_DEP_1)
	v_lshrrev_b16 v9, 2, v16
	v_and_b32_e32 v9, 0xffff, v9
	s_delay_alu instid0(VALU_DEP_1) | instskip(NEXT) | instid1(VALU_DEP_1)
	v_mul_u32_u24_e32 v9, 0x4925, v9
	v_lshrrev_b32_e32 v9, 17, v9
	s_delay_alu instid0(VALU_DEP_1) | instskip(NEXT) | instid1(VALU_DEP_1)
	v_mul_lo_u16 v9, v9, 28
	v_sub_nc_u16 v9, v16, v9
	s_delay_alu instid0(VALU_DEP_1) | instskip(NEXT) | instid1(VALU_DEP_1)
	v_and_b32_e32 v9, 0xffff, v9
	v_lshlrev_b32_e32 v11, 4, v9
	global_load_b128 v[22:25], v11, s[4:5] offset:384
	s_waitcnt vmcnt(0)
	v_mul_f64 v[9:10], v[0:1], v[24:25]
	v_mul_f64 v[13:14], v[2:3], v[24:25]
	s_delay_alu instid0(VALU_DEP_2) | instskip(NEXT) | instid1(VALU_DEP_2)
	v_fma_f64 v[2:3], v[2:3], v[22:23], -v[9:10]
	v_fma_f64 v[0:1], v[0:1], v[22:23], v[13:14]
	v_add_nc_u32_e32 v9, 0, v11
	s_delay_alu instid0(VALU_DEP_3) | instskip(NEXT) | instid1(VALU_DEP_3)
	v_add_f64 v[2:3], v[6:7], -v[2:3]
	v_add_f64 v[0:1], v[4:5], -v[0:1]
	s_delay_alu instid0(VALU_DEP_2) | instskip(NEXT) | instid1(VALU_DEP_2)
	v_fma_f64 v[6:7], v[6:7], 2.0, -v[2:3]
	v_fma_f64 v[4:5], v[4:5], 2.0, -v[0:1]
	ds_store_b128 v9, v[4:7] offset:30464
	ds_store_b128 v9, v[0:3] offset:30912
.LBB0_19:
	s_or_b32 exec_lo, exec_lo, s1
	v_mul_u32_u24_e32 v0, 6, v144
	s_waitcnt lgkmcnt(0)
	s_barrier
	buffer_gl0_inv
	v_add_nc_u32_e32 v143, v145, v8
	v_lshlrev_b32_e32 v15, 4, v0
	s_mov_b32 s20, 0xe976ee23
	s_mov_b32 s21, 0x3fe11646
	;; [unrolled: 1-line block ×4, first 2 shown]
	s_clause 0x1
	global_load_b128 v[0:3], v15, s[4:5] offset:832
	global_load_b128 v[4:7], v15, s[4:5] offset:848
	ds_load_b128 v[8:11], v143
	s_mov_b32 s3, 0x3fac98ee
	s_mov_b32 s13, 0xbfebfeb5
	;; [unrolled: 1-line block ×16, first 2 shown]
	s_waitcnt vmcnt(1) lgkmcnt(0)
	v_mul_f64 v[13:14], v[10:11], v[2:3]
	s_delay_alu instid0(VALU_DEP_1) | instskip(SKIP_1) | instid1(VALU_DEP_1)
	v_fma_f64 v[22:23], v[8:9], v[0:1], v[13:14]
	v_mul_f64 v[8:9], v[8:9], v[2:3]
	v_fma_f64 v[13:14], v[10:11], v[0:1], -v[8:9]
	ds_load_b128 v[8:11], v214 offset:5376
	ds_load_b128 v[40:43], v214
	s_waitcnt lgkmcnt(1)
	v_mul_f64 v[24:25], v[10:11], v[2:3]
	v_mul_f64 v[2:3], v[8:9], v[2:3]
	s_delay_alu instid0(VALU_DEP_2) | instskip(NEXT) | instid1(VALU_DEP_2)
	v_fma_f64 v[56:57], v[8:9], v[0:1], v[24:25]
	v_fma_f64 v[58:59], v[10:11], v[0:1], -v[2:3]
	ds_load_b128 v[0:3], v214 offset:8960
	ds_load_b128 v[8:11], v214 offset:8064
	s_waitcnt vmcnt(0) lgkmcnt(1)
	v_mul_f64 v[24:25], v[2:3], v[6:7]
	s_delay_alu instid0(VALU_DEP_1) | instskip(SKIP_1) | instid1(VALU_DEP_1)
	v_fma_f64 v[121:122], v[0:1], v[4:5], v[24:25]
	v_mul_f64 v[0:1], v[0:1], v[6:7]
	v_fma_f64 v[119:120], v[2:3], v[4:5], -v[0:1]
	ds_load_b128 v[0:3], v214 offset:9856
	ds_load_b128 v[24:27], v214 offset:10752
	s_waitcnt lgkmcnt(1)
	v_mul_f64 v[28:29], v[2:3], v[6:7]
	s_delay_alu instid0(VALU_DEP_1) | instskip(SKIP_1) | instid1(VALU_DEP_1)
	v_fma_f64 v[66:67], v[0:1], v[4:5], v[28:29]
	v_mul_f64 v[0:1], v[0:1], v[6:7]
	v_fma_f64 v[64:65], v[2:3], v[4:5], -v[0:1]
	s_clause 0x1
	global_load_b128 v[0:3], v15, s[4:5] offset:864
	global_load_b128 v[4:7], v15, s[4:5] offset:880
	ds_load_b128 v[28:31], v214 offset:13440
	ds_load_b128 v[32:35], v214 offset:14336
	s_waitcnt vmcnt(1) lgkmcnt(1)
	v_mul_f64 v[36:37], v[30:31], v[2:3]
	s_delay_alu instid0(VALU_DEP_1) | instskip(SKIP_1) | instid1(VALU_DEP_1)
	v_fma_f64 v[133:134], v[28:29], v[0:1], v[36:37]
	v_mul_f64 v[28:29], v[28:29], v[2:3]
	v_fma_f64 v[131:132], v[30:31], v[0:1], -v[28:29]
	s_waitcnt lgkmcnt(0)
	v_mul_f64 v[28:29], v[34:35], v[2:3]
	v_mul_f64 v[2:3], v[32:33], v[2:3]
	s_delay_alu instid0(VALU_DEP_2) | instskip(NEXT) | instid1(VALU_DEP_2)
	v_fma_f64 v[78:79], v[32:33], v[0:1], v[28:29]
	v_fma_f64 v[74:75], v[34:35], v[0:1], -v[2:3]
	ds_load_b128 v[0:3], v214 offset:17920
	ds_load_b128 v[36:39], v214 offset:17024
	s_waitcnt vmcnt(0) lgkmcnt(1)
	v_mul_f64 v[28:29], v[2:3], v[6:7]
	s_delay_alu instid0(VALU_DEP_1) | instskip(SKIP_1) | instid1(VALU_DEP_2)
	v_fma_f64 v[168:169], v[0:1], v[4:5], v[28:29]
	v_mul_f64 v[0:1], v[0:1], v[6:7]
	v_add_f64 v[188:189], v[133:134], v[168:169]
	s_delay_alu instid0(VALU_DEP_2)
	v_fma_f64 v[166:167], v[2:3], v[4:5], -v[0:1]
	ds_load_b128 v[0:3], v214 offset:18816
	ds_load_b128 v[28:31], v214 offset:19712
	v_add_f64 v[168:169], v[168:169], -v[133:134]
	s_waitcnt lgkmcnt(1)
	v_mul_f64 v[32:33], v[2:3], v[6:7]
	v_add_f64 v[192:193], v[131:132], v[166:167]
	v_add_f64 v[166:167], v[166:167], -v[131:132]
	s_delay_alu instid0(VALU_DEP_3) | instskip(SKIP_1) | instid1(VALU_DEP_1)
	v_fma_f64 v[94:95], v[0:1], v[4:5], v[32:33]
	v_mul_f64 v[0:1], v[0:1], v[6:7]
	v_fma_f64 v[86:87], v[2:3], v[4:5], -v[0:1]
	s_clause 0x1
	global_load_b128 v[0:3], v15, s[4:5] offset:896
	global_load_b128 v[4:7], v15, s[4:5] offset:912
	ds_load_b128 v[32:35], v214 offset:22400
	ds_load_b128 v[44:47], v214 offset:23296
	s_waitcnt vmcnt(1) lgkmcnt(1)
	v_mul_f64 v[48:49], v[34:35], v[2:3]
	s_delay_alu instid0(VALU_DEP_1) | instskip(SKIP_1) | instid1(VALU_DEP_2)
	v_fma_f64 v[172:173], v[32:33], v[0:1], v[48:49]
	v_mul_f64 v[32:33], v[32:33], v[2:3]
	v_add_f64 v[198:199], v[121:122], v[172:173]
	s_delay_alu instid0(VALU_DEP_2) | instskip(SKIP_4) | instid1(VALU_DEP_4)
	v_fma_f64 v[170:171], v[34:35], v[0:1], -v[32:33]
	s_waitcnt lgkmcnt(0)
	v_mul_f64 v[32:33], v[46:47], v[2:3]
	v_mul_f64 v[2:3], v[44:45], v[2:3]
	v_add_f64 v[121:122], v[121:122], -v[172:173]
	v_add_f64 v[200:201], v[119:120], v[170:171]
	s_delay_alu instid0(VALU_DEP_4) | instskip(NEXT) | instid1(VALU_DEP_4)
	v_fma_f64 v[104:105], v[44:45], v[0:1], v[32:33]
	v_fma_f64 v[102:103], v[46:47], v[0:1], -v[2:3]
	ds_load_b128 v[0:3], v214 offset:26880
	ds_load_b128 v[48:51], v214 offset:25984
	v_add_f64 v[119:120], v[119:120], -v[170:171]
	v_add_f64 v[133:134], v[168:169], -v[121:122]
	v_add_f64 v[131:132], v[168:169], v[121:122]
	s_waitcnt vmcnt(0) lgkmcnt(1)
	v_mul_f64 v[32:33], v[2:3], v[6:7]
	s_delay_alu instid0(VALU_DEP_3) | instskip(NEXT) | instid1(VALU_DEP_2)
	v_mul_f64 v[253:254], v[133:134], s[20:21]
	v_fma_f64 v[176:177], v[0:1], v[4:5], v[32:33]
	v_mul_f64 v[0:1], v[0:1], v[6:7]
	s_delay_alu instid0(VALU_DEP_2) | instskip(NEXT) | instid1(VALU_DEP_2)
	v_add_f64 v[186:187], v[22:23], v[176:177]
	v_fma_f64 v[174:175], v[2:3], v[4:5], -v[0:1]
	ds_load_b128 v[0:3], v214 offset:27776
	ds_load_b128 v[32:35], v214 offset:28672
	v_add_f64 v[22:23], v[22:23], -v[176:177]
	v_add_f64 v[176:177], v[192:193], -v[200:201]
	s_waitcnt lgkmcnt(1)
	v_mul_f64 v[44:45], v[2:3], v[6:7]
	v_add_f64 v[170:171], v[198:199], -v[186:187]
	v_add_f64 v[190:191], v[13:14], v[174:175]
	v_add_f64 v[13:14], v[13:14], -v[174:175]
	v_add_f64 v[174:175], v[188:189], -v[198:199]
	v_add_f64 v[249:250], v[131:132], v[22:23]
	v_fma_f64 v[106:107], v[0:1], v[4:5], v[44:45]
	v_mul_f64 v[0:1], v[0:1], v[6:7]
	v_add_f64 v[172:173], v[200:201], -v[190:191]
	v_add_f64 v[247:248], v[119:120], -v[13:14]
	s_delay_alu instid0(VALU_DEP_3) | instskip(SKIP_1) | instid1(VALU_DEP_1)
	v_fma_f64 v[108:109], v[2:3], v[4:5], -v[0:1]
	v_lshrrev_b16 v0, 3, v163
	v_and_b32_e32 v0, 31, v0
	s_delay_alu instid0(VALU_DEP_1) | instskip(NEXT) | instid1(VALU_DEP_1)
	v_mul_lo_u16 v0, v0, 37
	v_lshrrev_b16 v0, 8, v0
	s_delay_alu instid0(VALU_DEP_1) | instskip(NEXT) | instid1(VALU_DEP_1)
	v_mul_lo_u16 v0, v0, 56
	v_sub_nc_u16 v0, v163, v0
	s_delay_alu instid0(VALU_DEP_1) | instskip(NEXT) | instid1(VALU_DEP_1)
	v_and_b32_e32 v155, 0xff, v0
	v_mul_u32_u24_e32 v0, 6, v155
	s_delay_alu instid0(VALU_DEP_1)
	v_lshlrev_b32_e32 v15, 4, v0
	s_clause 0x1
	global_load_b128 v[0:3], v15, s[4:5] offset:832
	global_load_b128 v[4:7], v15, s[4:5] offset:848
	ds_load_b128 v[44:47], v214 offset:6272
	ds_load_b128 v[52:55], v214 offset:7168
	s_waitcnt vmcnt(1) lgkmcnt(1)
	v_mul_f64 v[60:61], v[46:47], v[2:3]
	v_mul_f64 v[2:3], v[44:45], v[2:3]
	s_delay_alu instid0(VALU_DEP_2) | instskip(NEXT) | instid1(VALU_DEP_2)
	v_fma_f64 v[113:114], v[44:45], v[0:1], v[60:61]
	v_fma_f64 v[110:111], v[46:47], v[0:1], -v[2:3]
	s_waitcnt vmcnt(0)
	v_mul_f64 v[0:1], v[26:27], v[6:7]
	s_delay_alu instid0(VALU_DEP_1) | instskip(SKIP_1) | instid1(VALU_DEP_1)
	v_fma_f64 v[117:118], v[24:25], v[4:5], v[0:1]
	v_mul_f64 v[0:1], v[24:25], v[6:7]
	v_fma_f64 v[115:116], v[26:27], v[4:5], -v[0:1]
	s_clause 0x1
	global_load_b128 v[0:3], v15, s[4:5] offset:864
	global_load_b128 v[4:7], v15, s[4:5] offset:880
	ds_load_b128 v[24:27], v214 offset:15232
	ds_load_b128 v[44:47], v214 offset:16128
	s_waitcnt vmcnt(1) lgkmcnt(1)
	v_mul_f64 v[60:61], v[26:27], v[2:3]
	v_mul_f64 v[2:3], v[24:25], v[2:3]
	s_delay_alu instid0(VALU_DEP_2) | instskip(NEXT) | instid1(VALU_DEP_2)
	v_fma_f64 v[125:126], v[24:25], v[0:1], v[60:61]
	v_fma_f64 v[123:124], v[26:27], v[0:1], -v[2:3]
	s_waitcnt vmcnt(0)
	v_mul_f64 v[0:1], v[30:31], v[6:7]
	s_delay_alu instid0(VALU_DEP_1) | instskip(SKIP_1) | instid1(VALU_DEP_2)
	v_fma_f64 v[129:130], v[28:29], v[4:5], v[0:1]
	v_mul_f64 v[0:1], v[28:29], v[6:7]
	v_add_f64 v[204:205], v[125:126], v[129:130]
	s_delay_alu instid0(VALU_DEP_2)
	v_fma_f64 v[127:128], v[30:31], v[4:5], -v[0:1]
	s_clause 0x1
	global_load_b128 v[0:3], v15, s[4:5] offset:896
	global_load_b128 v[4:7], v15, s[4:5] offset:912
	ds_load_b128 v[24:27], v214 offset:24192
	ds_load_b128 v[28:31], v214 offset:25088
	v_add_f64 v[208:209], v[123:124], v[127:128]
	v_add_f64 v[127:128], v[127:128], -v[123:124]
	s_waitcnt vmcnt(1) lgkmcnt(1)
	v_mul_f64 v[60:61], v[26:27], v[2:3]
	v_mul_f64 v[2:3], v[24:25], v[2:3]
	s_delay_alu instid0(VALU_DEP_2) | instskip(NEXT) | instid1(VALU_DEP_2)
	v_fma_f64 v[137:138], v[24:25], v[0:1], v[60:61]
	v_fma_f64 v[135:136], v[26:27], v[0:1], -v[2:3]
	s_waitcnt vmcnt(0)
	v_mul_f64 v[0:1], v[34:35], v[6:7]
	s_delay_alu instid0(VALU_DEP_3) | instskip(NEXT) | instid1(VALU_DEP_3)
	v_add_f64 v[227:228], v[117:118], v[137:138]
	v_add_f64 v[229:230], v[115:116], v[135:136]
	s_delay_alu instid0(VALU_DEP_3) | instskip(SKIP_1) | instid1(VALU_DEP_2)
	v_fma_f64 v[141:142], v[32:33], v[4:5], v[0:1]
	v_mul_f64 v[0:1], v[32:33], v[6:7]
	v_add_f64 v[202:203], v[113:114], v[141:142]
	s_delay_alu instid0(VALU_DEP_2) | instskip(SKIP_1) | instid1(VALU_DEP_1)
	v_fma_f64 v[139:140], v[34:35], v[4:5], -v[0:1]
	v_lshrrev_b16 v0, 3, v162
	v_and_b32_e32 v0, 31, v0
	s_delay_alu instid0(VALU_DEP_1) | instskip(NEXT) | instid1(VALU_DEP_1)
	v_mul_lo_u16 v0, v0, 37
	v_lshrrev_b16 v0, 8, v0
	s_delay_alu instid0(VALU_DEP_1) | instskip(NEXT) | instid1(VALU_DEP_1)
	v_mul_lo_u16 v0, v0, 56
	v_sub_nc_u16 v0, v162, v0
	s_delay_alu instid0(VALU_DEP_1) | instskip(NEXT) | instid1(VALU_DEP_1)
	v_and_b32_e32 v145, 0xff, v0
	v_mul_u32_u24_e32 v0, 6, v145
	v_add_f64 v[206:207], v[110:111], v[139:140]
	v_add_f64 v[110:111], v[110:111], -v[139:140]
	v_add_f64 v[139:140], v[204:205], -v[227:228]
	s_delay_alu instid0(VALU_DEP_4)
	v_lshlrev_b32_e32 v15, 4, v0
	s_clause 0x1
	global_load_b128 v[0:3], v15, s[4:5] offset:832
	global_load_b128 v[4:7], v15, s[4:5] offset:848
	s_waitcnt vmcnt(1)
	v_mul_f64 v[24:25], v[54:55], v[2:3]
	v_mul_f64 v[2:3], v[52:53], v[2:3]
	s_delay_alu instid0(VALU_DEP_2) | instskip(NEXT) | instid1(VALU_DEP_2)
	v_fma_f64 v[62:63], v[52:53], v[0:1], v[24:25]
	v_fma_f64 v[60:61], v[54:55], v[0:1], -v[2:3]
	ds_load_b128 v[0:3], v214 offset:11648
	ds_load_b128 v[32:35], v214 offset:12544
	s_waitcnt vmcnt(0) lgkmcnt(1)
	v_mul_f64 v[24:25], v[2:3], v[6:7]
	s_delay_alu instid0(VALU_DEP_1) | instskip(SKIP_1) | instid1(VALU_DEP_1)
	v_fma_f64 v[70:71], v[0:1], v[4:5], v[24:25]
	v_mul_f64 v[0:1], v[0:1], v[6:7]
	v_fma_f64 v[68:69], v[2:3], v[4:5], -v[0:1]
	s_clause 0x1
	global_load_b128 v[0:3], v15, s[4:5] offset:864
	global_load_b128 v[4:7], v15, s[4:5] offset:880
	s_waitcnt vmcnt(1)
	v_mul_f64 v[24:25], v[46:47], v[2:3]
	v_mul_f64 v[2:3], v[44:45], v[2:3]
	s_delay_alu instid0(VALU_DEP_2) | instskip(NEXT) | instid1(VALU_DEP_2)
	v_fma_f64 v[76:77], v[44:45], v[0:1], v[24:25]
	v_fma_f64 v[72:73], v[46:47], v[0:1], -v[2:3]
	ds_load_b128 v[0:3], v214 offset:20608
	ds_load_b128 v[44:47], v214 offset:21504
	s_waitcnt vmcnt(0) lgkmcnt(1)
	v_mul_f64 v[24:25], v[2:3], v[6:7]
	s_delay_alu instid0(VALU_DEP_1) | instskip(SKIP_1) | instid1(VALU_DEP_2)
	v_fma_f64 v[82:83], v[0:1], v[4:5], v[24:25]
	v_mul_f64 v[0:1], v[0:1], v[6:7]
	v_add_f64 v[235:236], v[76:77], v[82:83]
	s_delay_alu instid0(VALU_DEP_2)
	v_fma_f64 v[80:81], v[2:3], v[4:5], -v[0:1]
	s_clause 0x1
	global_load_b128 v[0:3], v15, s[4:5] offset:896
	global_load_b128 v[4:7], v15, s[4:5] offset:912
	v_add_f64 v[243:244], v[72:73], v[80:81]
	s_waitcnt vmcnt(1)
	v_mul_f64 v[24:25], v[30:31], v[2:3]
	v_mul_f64 v[2:3], v[28:29], v[2:3]
	s_delay_alu instid0(VALU_DEP_2) | instskip(NEXT) | instid1(VALU_DEP_2)
	v_fma_f64 v[90:91], v[28:29], v[0:1], v[24:25]
	v_fma_f64 v[88:89], v[30:31], v[0:1], -v[2:3]
	ds_load_b128 v[0:3], v214 offset:29568
	ds_load_b128 v[178:181], v214 offset:30464
	s_waitcnt vmcnt(0) lgkmcnt(1)
	v_mul_f64 v[24:25], v[2:3], v[6:7]
	v_add_f64 v[233:234], v[70:71], v[90:91]
	v_add_f64 v[241:242], v[68:69], v[88:89]
	s_delay_alu instid0(VALU_DEP_3) | instskip(SKIP_1) | instid1(VALU_DEP_2)
	v_fma_f64 v[98:99], v[0:1], v[4:5], v[24:25]
	v_mul_f64 v[0:1], v[0:1], v[6:7]
	v_add_f64 v[231:232], v[62:63], v[98:99]
	s_delay_alu instid0(VALU_DEP_2) | instskip(SKIP_1) | instid1(VALU_DEP_1)
	v_fma_f64 v[96:97], v[2:3], v[4:5], -v[0:1]
	v_lshrrev_b16 v0, 3, v161
	v_and_b32_e32 v0, 0xffff, v0
	s_delay_alu instid0(VALU_DEP_1) | instskip(NEXT) | instid1(VALU_DEP_1)
	v_mul_u32_u24_e32 v0, 0x2493, v0
	v_lshrrev_b32_e32 v0, 16, v0
	s_delay_alu instid0(VALU_DEP_1) | instskip(NEXT) | instid1(VALU_DEP_1)
	v_mul_lo_u16 v0, v0, 56
	v_sub_nc_u16 v0, v161, v0
	s_delay_alu instid0(VALU_DEP_1) | instskip(NEXT) | instid1(VALU_DEP_1)
	v_and_b32_e32 v15, 0xffff, v0
	v_mul_u32_u24_e32 v0, 6, v15
	v_lshl_add_u32 v15, v15, 4, 0
	v_add_f64 v[239:240], v[60:61], v[96:97]
	s_delay_alu instid0(VALU_DEP_3)
	v_lshlrev_b32_e32 v52, 4, v0
	s_clause 0x1
	global_load_b128 v[0:3], v52, s[4:5] offset:832
	global_load_b128 v[4:7], v52, s[4:5] offset:848
	s_waitcnt vmcnt(1)
	v_mul_f64 v[24:25], v[10:11], v[2:3]
	v_mul_f64 v[2:3], v[8:9], v[2:3]
	s_delay_alu instid0(VALU_DEP_2) | instskip(NEXT) | instid1(VALU_DEP_2)
	v_fma_f64 v[26:27], v[8:9], v[0:1], v[24:25]
	v_fma_f64 v[24:25], v[10:11], v[0:1], -v[2:3]
	s_waitcnt vmcnt(0)
	v_mul_f64 v[0:1], v[34:35], v[6:7]
	s_delay_alu instid0(VALU_DEP_1) | instskip(SKIP_1) | instid1(VALU_DEP_1)
	v_fma_f64 v[30:31], v[32:33], v[4:5], v[0:1]
	v_mul_f64 v[0:1], v[32:33], v[6:7]
	v_fma_f64 v[28:29], v[34:35], v[4:5], -v[0:1]
	s_clause 0x1
	global_load_b128 v[0:3], v52, s[4:5] offset:864
	global_load_b128 v[4:7], v52, s[4:5] offset:880
	s_waitcnt vmcnt(1)
	v_mul_f64 v[8:9], v[38:39], v[2:3]
	v_mul_f64 v[2:3], v[36:37], v[2:3]
	s_delay_alu instid0(VALU_DEP_2) | instskip(NEXT) | instid1(VALU_DEP_2)
	v_fma_f64 v[34:35], v[36:37], v[0:1], v[8:9]
	v_fma_f64 v[32:33], v[38:39], v[0:1], -v[2:3]
	s_waitcnt vmcnt(0)
	v_mul_f64 v[0:1], v[46:47], v[6:7]
	s_delay_alu instid0(VALU_DEP_1) | instskip(SKIP_1) | instid1(VALU_DEP_1)
	v_fma_f64 v[38:39], v[44:45], v[4:5], v[0:1]
	v_mul_f64 v[0:1], v[44:45], v[6:7]
	v_fma_f64 v[36:37], v[46:47], v[4:5], -v[0:1]
	s_clause 0x1
	global_load_b128 v[0:3], v52, s[4:5] offset:896
	global_load_b128 v[4:7], v52, s[4:5] offset:912
	v_add_f64 v[52:53], v[64:65], v[102:103]
	v_add_f64 v[102:103], v[64:65], -v[102:103]
	v_add_f64 v[64:65], v[243:244], -v[241:242]
	s_waitcnt vmcnt(1)
	v_mul_f64 v[8:9], v[50:51], v[2:3]
	v_mul_f64 v[2:3], v[48:49], v[2:3]
	s_delay_alu instid0(VALU_DEP_2) | instskip(NEXT) | instid1(VALU_DEP_2)
	v_fma_f64 v[46:47], v[48:49], v[0:1], v[8:9]
	v_fma_f64 v[44:45], v[50:51], v[0:1], -v[2:3]
	s_waitcnt vmcnt(0) lgkmcnt(0)
	v_mul_f64 v[0:1], v[180:181], v[6:7]
	v_add_f64 v[48:49], v[58:59], v[108:109]
	s_delay_alu instid0(VALU_DEP_2) | instskip(SKIP_2) | instid1(VALU_DEP_2)
	v_fma_f64 v[54:55], v[178:179], v[4:5], v[0:1]
	v_mul_f64 v[0:1], v[178:179], v[6:7]
	v_add_f64 v[178:179], v[78:79], v[94:95]
	v_fma_f64 v[50:51], v[180:181], v[4:5], -v[0:1]
	v_add_f64 v[0:1], v[198:199], v[186:187]
	v_add_f64 v[198:199], v[121:122], -v[22:23]
	v_add_f64 v[121:122], v[166:167], v[119:120]
	v_add_f64 v[22:23], v[22:23], -v[168:169]
	v_mul_f64 v[168:169], v[247:248], s[12:13]
	v_add_f64 v[180:181], v[74:75], v[86:87]
	v_add_f64 v[194:195], v[188:189], v[0:1]
	;; [unrolled: 1-line block ×3, first 2 shown]
	v_add_f64 v[200:201], v[166:167], -v[119:120]
	v_mul_f64 v[119:120], v[174:175], s[2:3]
	v_fma_f64 v[131:132], v[198:199], s[12:13], -v[253:254]
	v_add_f64 v[251:252], v[121:122], v[13:14]
	v_mul_f64 v[121:122], v[176:177], s[2:3]
	v_add_f64 v[13:14], v[13:14], -v[166:167]
	v_mul_f64 v[166:167], v[198:199], s[12:13]
	v_add_f64 v[196:197], v[192:193], v[0:1]
	v_add_f64 v[0:1], v[40:41], v[194:195]
	v_mul_f64 v[200:201], v[200:201], s[20:21]
	v_fma_f64 v[119:120], v[170:171], s[10:11], -v[119:120]
	v_fma_f64 v[133:134], v[249:250], s[6:7], v[131:132]
	v_fma_f64 v[121:122], v[172:173], s[10:11], -v[121:122]
	v_add_f64 v[40:41], v[56:57], v[106:107]
	v_fma_f64 v[166:167], v[22:23], s[16:17], -v[166:167]
	v_fma_f64 v[168:169], v[13:14], s[16:17], -v[168:169]
	v_fma_f64 v[22:23], v[22:23], s[22:23], v[253:254]
	v_add_f64 v[2:3], v[42:43], v[196:197]
	v_fma_f64 v[194:195], v[194:195], s[18:19], v[0:1]
	v_fma_f64 v[131:132], v[247:248], s[12:13], -v[200:201]
	v_add_f64 v[42:43], v[66:67], v[104:105]
	v_fma_f64 v[13:14], v[13:14], s[22:23], v[200:201]
	v_add_f64 v[104:105], v[66:67], -v[104:105]
	v_fma_f64 v[22:23], v[249:250], s[6:7], v[22:23]
	v_fma_f64 v[196:197], v[196:197], s[18:19], v[2:3]
	v_add_f64 v[152:153], v[119:120], v[194:195]
	v_fma_f64 v[131:132], v[251:252], s[6:7], v[131:132]
	v_add_f64 v[4:5], v[42:43], v[40:41]
	;; [unrolled: 2-line block ×3, first 2 shown]
	s_delay_alu instid0(VALU_DEP_4)
	v_add_f64 v[119:120], v[152:153], -v[131:132]
	v_add_f64 v[131:132], v[131:132], v[152:153]
	v_add_f64 v[152:153], v[186:187], -v[188:189]
	v_add_f64 v[186:187], v[190:191], -v[192:193]
	v_fma_f64 v[188:189], v[249:250], s[6:7], v[166:167]
	v_fma_f64 v[190:191], v[251:252], s[6:7], v[168:169]
	v_add_f64 v[182:183], v[178:179], v[4:5]
	v_add_f64 v[4:5], v[52:53], v[48:49]
	;; [unrolled: 1-line block ×3, first 2 shown]
	v_add_f64 v[133:134], v[216:217], -v[133:134]
	v_mul_f64 v[152:153], v[152:153], s[24:25]
	v_mul_f64 v[186:187], v[186:187], s[24:25]
	v_add_f64 v[184:185], v[180:181], v[4:5]
	ds_load_b128 v[4:7], v215
	ds_load_b128 v[219:222], v151
	s_waitcnt lgkmcnt(1)
	v_add_f64 v[8:9], v[4:5], v[182:183]
	v_add_f64 v[4:5], v[227:228], v[202:203]
	v_fma_f64 v[170:171], v[170:171], s[14:15], -v[152:153]
	v_fma_f64 v[172:173], v[172:173], s[14:15], -v[186:187]
	v_fma_f64 v[152:153], v[174:175], s[2:3], v[152:153]
	v_fma_f64 v[174:175], v[176:177], s[2:3], v[186:187]
	v_add_f64 v[10:11], v[6:7], v[184:185]
	v_add_f64 v[210:211], v[204:205], v[4:5]
	;; [unrolled: 1-line block ×6, first 2 shown]
	s_delay_alu instid0(VALU_DEP_4)
	v_add_f64 v[212:213], v[208:209], v[4:5]
	s_waitcnt lgkmcnt(0)
	v_add_f64 v[4:5], v[219:220], v[210:211]
	v_add_f64 v[219:220], v[233:234], v[231:232]
	v_add_f64 v[166:167], v[190:191], v[170:171]
	v_add_f64 v[168:169], v[172:173], -v[188:189]
	v_add_f64 v[172:173], v[188:189], v[172:173]
	v_add_f64 v[188:189], v[174:175], v[196:197]
	;; [unrolled: 1-line block ×3, first 2 shown]
	v_add_f64 v[186:187], v[152:153], -v[13:14]
	v_add_f64 v[13:14], v[117:118], -v[137:138]
	;; [unrolled: 1-line block ×7, first 2 shown]
	v_add_f64 v[6:7], v[221:222], v[212:213]
	v_fma_f64 v[198:199], v[210:211], s[18:19], v[4:5]
	v_add_f64 v[237:238], v[235:236], v[219:220]
	v_add_f64 v[219:220], v[241:242], v[239:240]
	v_add_f64 v[176:177], v[188:189], -v[22:23]
	v_add_f64 v[188:189], v[22:23], v[188:189]
	v_add_f64 v[22:23], v[129:130], -v[125:126]
	v_add_f64 v[129:130], v[227:228], -v[202:203]
	;; [unrolled: 1-line block ×3, first 2 shown]
	v_add_f64 v[125:126], v[127:128], v[113:114]
	v_add_f64 v[152:153], v[113:114], -v[110:111]
	v_mul_f64 v[113:114], v[139:140], s[2:3]
	v_fma_f64 v[200:201], v[212:213], s[18:19], v[6:7]
	v_add_f64 v[245:246], v[243:244], v[219:220]
	ds_load_b128 v[219:222], v149
	ds_load_b128 v[223:226], v147
	s_waitcnt lgkmcnt(0)
	s_barrier
	buffer_gl0_inv
	ds_store_b128 v214, v[0:3]
	ds_store_b128 v214, v[174:177] offset:896
	ds_store_b128 v214, v[166:169] offset:1792
	;; [unrolled: 1-line block ×5, first 2 shown]
	v_add_f64 v[0:1], v[94:95], -v[78:79]
	v_add_f64 v[78:79], v[56:57], -v[106:107]
	;; [unrolled: 1-line block ×3, first 2 shown]
	v_add_f64 v[115:116], v[22:23], v[13:14]
	v_add_f64 v[13:14], v[13:14], -v[117:118]
	v_mul_f64 v[196:197], v[137:138], s[20:21]
	v_add_f64 v[192:193], v[125:126], v[110:111]
	v_add_f64 v[22:23], v[117:118], -v[22:23]
	v_fma_f64 v[113:114], v[129:130], s[10:11], -v[113:114]
	v_add_f64 v[110:111], v[110:111], -v[127:128]
	v_add_f64 v[2:3], v[86:87], -v[74:75]
	;; [unrolled: 1-line block ×3, first 2 shown]
	ds_store_b128 v214, v[8:11] offset:6272
	ds_store_b128 v214, v[186:189] offset:5376
	v_add_f64 v[74:75], v[178:179], -v[42:43]
	v_add_f64 v[86:87], v[180:181], -v[52:53]
	v_add_f64 v[219:220], v[219:220], v[237:238]
	v_add_f64 v[58:59], v[233:234], -v[231:232]
	v_add_f64 v[221:222], v[221:222], v[245:246]
	v_add_f64 v[56:57], v[0:1], v[104:105]
	v_add_f64 v[106:107], v[78:79], -v[0:1]
	v_mul_f64 v[194:195], v[123:124], s[20:21]
	v_add_f64 v[190:191], v[115:116], v[117:118]
	v_mul_f64 v[117:118], v[152:153], s[12:13]
	v_mul_f64 v[115:116], v[141:142], s[2:3]
	v_add_f64 v[137:138], v[113:114], v[198:199]
	v_add_f64 v[119:120], v[56:57], v[78:79]
	v_add_f64 v[56:57], v[60:61], -v[96:97]
	v_fma_f64 v[123:124], v[13:14], s[12:13], -v[194:195]
	v_mul_f64 v[13:14], v[13:14], s[12:13]
	v_fma_f64 v[117:118], v[110:111], s[16:17], -v[117:118]
	v_fma_f64 v[115:116], v[135:136], s[10:11], -v[115:116]
	v_add_f64 v[60:61], v[235:236], -v[233:234]
	v_fma_f64 v[125:126], v[190:191], s[6:7], v[123:124]
	v_fma_f64 v[123:124], v[152:153], s[12:13], -v[196:197]
	v_fma_f64 v[13:14], v[22:23], s[16:17], -v[13:14]
	v_fma_f64 v[117:118], v[192:193], s[6:7], v[117:118]
	v_add_f64 v[210:211], v[115:116], v[200:201]
	s_delay_alu instid0(VALU_DEP_4) | instskip(NEXT) | instid1(VALU_DEP_4)
	v_fma_f64 v[123:124], v[192:193], s[6:7], v[123:124]
	v_fma_f64 v[13:14], v[190:191], s[6:7], v[13:14]
	s_delay_alu instid0(VALU_DEP_3) | instskip(SKIP_1) | instid1(VALU_DEP_4)
	v_add_f64 v[115:116], v[125:126], v[210:211]
	v_add_f64 v[125:126], v[210:211], -v[125:126]
	v_add_f64 v[113:114], v[137:138], -v[123:124]
	v_add_f64 v[123:124], v[123:124], v[137:138]
	v_add_f64 v[137:138], v[202:203], -v[204:205]
	v_add_f64 v[202:203], v[206:207], -v[208:209]
	s_delay_alu instid0(VALU_DEP_2) | instskip(NEXT) | instid1(VALU_DEP_2)
	v_mul_f64 v[152:153], v[137:138], s[24:25]
	v_mul_f64 v[202:203], v[202:203], s[24:25]
	s_delay_alu instid0(VALU_DEP_2) | instskip(NEXT) | instid1(VALU_DEP_2)
	v_fma_f64 v[127:128], v[129:130], s[14:15], -v[152:153]
	v_fma_f64 v[129:130], v[135:136], s[14:15], -v[202:203]
	s_delay_alu instid0(VALU_DEP_2) | instskip(NEXT) | instid1(VALU_DEP_2)
	v_add_f64 v[135:136], v[127:128], v[198:199]
	v_add_f64 v[137:138], v[129:130], v[200:201]
	s_delay_alu instid0(VALU_DEP_2) | instskip(NEXT) | instid1(VALU_DEP_2)
	v_add_f64 v[127:128], v[117:118], v[135:136]
	v_add_f64 v[129:130], v[137:138], -v[13:14]
	v_add_f64 v[137:138], v[13:14], v[137:138]
	v_fma_f64 v[13:14], v[22:23], s[22:23], v[194:195]
	v_fma_f64 v[22:23], v[110:111], s[22:23], v[196:197]
	;; [unrolled: 1-line block ×3, first 2 shown]
	v_add_f64 v[135:136], v[135:136], -v[117:118]
	v_fma_f64 v[117:118], v[141:142], s[2:3], v[202:203]
	v_fma_f64 v[13:14], v[190:191], s[6:7], v[13:14]
	;; [unrolled: 1-line block ×3, first 2 shown]
	v_add_f64 v[110:111], v[110:111], v[198:199]
	s_delay_alu instid0(VALU_DEP_4) | instskip(NEXT) | instid1(VALU_DEP_2)
	v_add_f64 v[117:118], v[117:118], v[200:201]
	v_add_f64 v[139:140], v[22:23], v[110:111]
	v_add_f64 v[190:191], v[110:111], -v[22:23]
	v_add_f64 v[22:23], v[0:1], -v[104:105]
	v_add_f64 v[0:1], v[2:3], v[102:103]
	v_add_f64 v[141:142], v[117:118], -v[13:14]
	v_add_f64 v[192:193], v[13:14], v[117:118]
	v_fma_f64 v[13:14], v[182:183], s[18:19], v[8:9]
	v_add_f64 v[8:9], v[40:41], -v[178:179]
	v_add_f64 v[117:118], v[94:95], -v[2:3]
	v_fma_f64 v[110:111], v[184:185], s[18:19], v[10:11]
	v_add_f64 v[10:11], v[48:49], -v[180:181]
	v_mul_f64 v[108:109], v[22:23], s[20:21]
	v_add_f64 v[22:23], v[2:3], -v[102:103]
	v_add_f64 v[121:122], v[0:1], v[94:95]
	v_mul_f64 v[131:132], v[8:9], s[24:25]
	v_add_f64 v[8:9], v[82:83], -v[76:77]
	v_fma_f64 v[82:83], v[237:238], s[18:19], v[219:220]
	v_mul_f64 v[133:134], v[10:11], s[24:25]
	v_add_f64 v[10:11], v[62:63], -v[98:99]
	v_add_f64 v[62:63], v[241:242], -v[239:240]
	v_fma_f64 v[0:1], v[106:107], s[22:23], v[108:109]
	v_mul_f64 v[152:153], v[22:23], s[20:21]
	v_add_f64 v[22:23], v[80:81], -v[72:73]
	v_add_f64 v[98:99], v[10:11], -v[8:9]
	s_delay_alu instid0(VALU_DEP_4) | instskip(NEXT) | instid1(VALU_DEP_4)
	v_fma_f64 v[166:167], v[119:120], s[6:7], v[0:1]
	v_fma_f64 v[0:1], v[117:118], s[22:23], v[152:153]
	s_delay_alu instid0(VALU_DEP_1) | instskip(SKIP_1) | instid1(VALU_DEP_1)
	v_fma_f64 v[168:169], v[121:122], s[6:7], v[0:1]
	v_fma_f64 v[0:1], v[74:75], s[2:3], v[131:132]
	v_add_f64 v[170:171], v[0:1], v[13:14]
	v_fma_f64 v[0:1], v[86:87], s[2:3], v[133:134]
	s_delay_alu instid0(VALU_DEP_1) | instskip(NEXT) | instid1(VALU_DEP_3)
	v_add_f64 v[172:173], v[0:1], v[110:111]
	v_add_f64 v[0:1], v[168:169], v[170:171]
	s_delay_alu instid0(VALU_DEP_2)
	v_add_f64 v[2:3], v[172:173], -v[166:167]
	ds_store_b128 v255, v[0:3]
	v_lshl_add_u32 v0, v155, 4, 0
	ds_store_b128 v0, v[4:7] offset:12544
	ds_store_b128 v0, v[139:142] offset:13440
	;; [unrolled: 1-line block ×7, first 2 shown]
	v_add_f64 v[0:1], v[70:71], -v[90:91]
	v_add_f64 v[2:3], v[68:69], -v[88:89]
	v_fma_f64 v[88:89], v[245:246], s[18:19], v[221:222]
	v_lshl_add_u32 v113, v145, 4, 0
	v_lshl_add_u32 v192, v158, 4, 0
	v_add_f64 v[6:7], v[8:9], -v[0:1]
	v_add_f64 v[4:5], v[8:9], v[0:1]
	v_add_f64 v[66:67], v[0:1], -v[10:11]
	v_add_f64 v[0:1], v[22:23], v[2:3]
	v_add_f64 v[68:69], v[22:23], -v[2:3]
	v_add_f64 v[70:71], v[2:3], -v[56:57]
	v_mul_f64 v[2:3], v[64:65], s[2:3]
	v_add_f64 v[22:23], v[56:57], -v[22:23]
	v_mul_f64 v[80:81], v[6:7], s[20:21]
	v_add_f64 v[72:73], v[4:5], v[10:11]
	v_mul_f64 v[8:9], v[66:67], s[12:13]
	v_add_f64 v[76:77], v[0:1], v[56:57]
	v_mul_f64 v[68:69], v[68:69], s[20:21]
	v_mul_f64 v[0:1], v[60:61], s[2:3]
	v_fma_f64 v[2:3], v[62:63], s[10:11], -v[2:3]
	v_mul_f64 v[10:11], v[70:71], s[12:13]
	v_fma_f64 v[4:5], v[66:67], s[12:13], -v[80:81]
	v_fma_f64 v[8:9], v[98:99], s[16:17], -v[8:9]
	;; [unrolled: 1-line block ×3, first 2 shown]
	v_add_f64 v[96:97], v[2:3], v[88:89]
	v_fma_f64 v[10:11], v[22:23], s[16:17], -v[10:11]
	v_fma_f64 v[22:23], v[22:23], s[22:23], v[68:69]
	v_fma_f64 v[6:7], v[72:73], s[6:7], v[4:5]
	v_fma_f64 v[4:5], v[70:71], s[12:13], -v[68:69]
	v_add_f64 v[90:91], v[0:1], v[82:83]
	s_delay_alu instid0(VALU_DEP_4) | instskip(NEXT) | instid1(VALU_DEP_4)
	v_fma_f64 v[22:23], v[76:77], s[6:7], v[22:23]
	v_add_f64 v[2:3], v[6:7], v[96:97]
	s_delay_alu instid0(VALU_DEP_4) | instskip(SKIP_2) | instid1(VALU_DEP_3)
	v_fma_f64 v[4:5], v[76:77], s[6:7], v[4:5]
	v_add_f64 v[6:7], v[96:97], -v[6:7]
	v_add_f64 v[96:97], v[239:240], -v[243:244]
	;; [unrolled: 1-line block ×3, first 2 shown]
	v_add_f64 v[4:5], v[4:5], v[90:91]
	v_add_f64 v[90:91], v[231:232], -v[235:236]
	s_delay_alu instid0(VALU_DEP_4) | instskip(NEXT) | instid1(VALU_DEP_2)
	v_mul_f64 v[70:71], v[96:97], s[24:25]
	v_mul_f64 v[66:67], v[90:91], s[24:25]
	v_fma_f64 v[90:91], v[76:77], s[6:7], v[10:11]
	s_delay_alu instid0(VALU_DEP_3) | instskip(NEXT) | instid1(VALU_DEP_3)
	v_fma_f64 v[64:65], v[64:65], s[2:3], v[70:71]
	v_fma_f64 v[56:57], v[58:59], s[14:15], -v[66:67]
	v_fma_f64 v[58:59], v[62:63], s[14:15], -v[70:71]
	v_fma_f64 v[62:63], v[72:73], s[6:7], v[8:9]
	v_fma_f64 v[60:61], v[60:61], s[2:3], v[66:67]
	v_add_f64 v[70:71], v[64:65], v[88:89]
	v_add_f64 v[56:57], v[56:57], v[82:83]
	;; [unrolled: 1-line block ×3, first 2 shown]
	s_delay_alu instid0(VALU_DEP_4) | instskip(NEXT) | instid1(VALU_DEP_3)
	v_add_f64 v[68:69], v[60:61], v[82:83]
	v_add_f64 v[8:9], v[90:91], v[56:57]
	s_delay_alu instid0(VALU_DEP_3)
	v_add_f64 v[10:11], v[58:59], -v[62:63]
	v_add_f64 v[58:59], v[62:63], v[58:59]
	v_fma_f64 v[62:63], v[98:99], s[22:23], v[80:81]
	v_add_f64 v[60:61], v[22:23], v[68:69]
	v_add_f64 v[56:57], v[56:57], -v[90:91]
	v_add_f64 v[64:65], v[68:69], -v[22:23]
	v_add_f64 v[22:23], v[26:27], v[54:55]
	v_add_f64 v[26:27], v[26:27], -v[54:55]
	v_fma_f64 v[66:67], v[72:73], s[6:7], v[62:63]
	s_delay_alu instid0(VALU_DEP_1)
	v_add_f64 v[62:63], v[70:71], -v[66:67]
	v_add_f64 v[66:67], v[66:67], v[70:71]
	ds_store_b128 v113, v[219:222] offset:18816
	ds_store_b128 v113, v[60:63] offset:19712
	;; [unrolled: 1-line block ×7, first 2 shown]
	v_add_f64 v[4:5], v[30:31], v[46:47]
	v_add_f64 v[56:57], v[34:35], v[38:39]
	;; [unrolled: 1-line block ×5, first 2 shown]
	v_add_f64 v[30:31], v[30:31], -v[46:47]
	v_add_f64 v[34:35], v[38:39], -v[34:35]
	;; [unrolled: 1-line block ×5, first 2 shown]
	v_add_f64 v[0:1], v[4:5], v[22:23]
	v_add_f64 v[36:37], v[4:5], -v[22:23]
	v_add_f64 v[38:39], v[56:57], -v[4:5]
	;; [unrolled: 1-line block ×5, first 2 shown]
	v_add_f64 v[4:5], v[34:35], v[30:31]
	v_add_f64 v[50:51], v[32:33], v[28:29]
	v_add_f64 v[54:55], v[32:33], -v[28:29]
	v_add_f64 v[28:29], v[28:29], -v[24:25]
	v_add_f64 v[32:33], v[24:25], -v[32:33]
	v_add_f64 v[6:7], v[56:57], v[0:1]
	v_add_f64 v[0:1], v[8:9], v[58:59]
	v_add_f64 v[8:9], v[34:35], -v[30:31]
	v_add_f64 v[30:31], v[30:31], -v[26:27]
	;; [unrolled: 1-line block ×4, first 2 shown]
	v_add_f64 v[62:63], v[4:5], v[26:27]
	v_mul_f64 v[4:5], v[38:39], s[2:3]
	v_add_f64 v[50:51], v[50:51], v[24:25]
	v_mul_f64 v[54:55], v[54:55], s[20:21]
	v_mul_f64 v[26:27], v[28:29], s[12:13]
	v_add_f64 v[10:11], v[60:61], v[0:1]
	v_add_f64 v[0:1], v[223:224], v[6:7]
	v_mul_f64 v[64:65], v[8:9], s[20:21]
	v_mul_f64 v[24:25], v[30:31], s[12:13]
	;; [unrolled: 1-line block ×4, first 2 shown]
	v_fma_f64 v[4:5], v[36:37], s[10:11], -v[4:5]
	v_add_f64 v[2:3], v[225:226], v[10:11]
	v_fma_f64 v[66:67], v[6:7], s[18:19], v[0:1]
	v_fma_f64 v[6:7], v[30:31], s[12:13], -v[64:65]
	v_mul_f64 v[30:31], v[22:23], s[24:25]
	v_fma_f64 v[22:23], v[34:35], s[16:17], -v[24:25]
	v_fma_f64 v[24:25], v[32:33], s[16:17], -v[26:27]
	;; [unrolled: 1-line block ×3, first 2 shown]
	v_fma_f64 v[34:35], v[34:35], s[22:23], v[64:65]
	v_fma_f64 v[32:33], v[32:33], s[22:23], v[54:55]
	v_fma_f64 v[68:69], v[10:11], s[18:19], v[2:3]
	v_add_f64 v[72:73], v[4:5], v[66:67]
	v_fma_f64 v[10:11], v[62:63], s[6:7], v[6:7]
	v_fma_f64 v[6:7], v[28:29], s[12:13], -v[54:55]
	v_fma_f64 v[28:29], v[44:45], s[14:15], -v[56:57]
	v_fma_f64 v[26:27], v[36:37], s[14:15], -v[30:31]
	v_fma_f64 v[36:37], v[62:63], s[6:7], v[22:23]
	v_fma_f64 v[44:45], v[50:51], s[6:7], v[24:25]
	;; [unrolled: 1-line block ×5, first 2 shown]
	v_add_f64 v[76:77], v[8:9], v[68:69]
	v_fma_f64 v[70:71], v[50:51], s[6:7], v[6:7]
	v_add_f64 v[28:29], v[28:29], v[68:69]
	v_add_f64 v[26:27], v[26:27], v[66:67]
	s_delay_alu instid0(VALU_DEP_4)
	v_add_f64 v[6:7], v[10:11], v[76:77]
	v_add_f64 v[10:11], v[76:77], -v[10:11]
	v_add_f64 v[4:5], v[72:73], -v[70:71]
	v_add_f64 v[24:25], v[28:29], -v[36:37]
	v_add_f64 v[28:29], v[36:37], v[28:29]
	v_fma_f64 v[36:37], v[46:47], s[2:3], v[56:57]
	v_add_f64 v[22:23], v[44:45], v[26:27]
	v_add_f64 v[26:27], v[26:27], -v[44:45]
	v_add_f64 v[44:45], v[30:31], v[66:67]
	v_add_f64 v[8:9], v[70:71], v[72:73]
	;; [unrolled: 1-line block ×3, first 2 shown]
	s_delay_alu instid0(VALU_DEP_3) | instskip(SKIP_1) | instid1(VALU_DEP_3)
	v_add_f64 v[30:31], v[34:35], v[44:45]
	v_add_f64 v[34:35], v[44:45], -v[34:35]
	v_add_f64 v[32:33], v[36:37], -v[38:39]
	ds_store_b128 v15, v[0:3] offset:25088
	ds_store_b128 v15, v[30:33] offset:25984
	;; [unrolled: 1-line block ×6, first 2 shown]
	v_add_f64 v[6:7], v[42:43], -v[40:41]
	v_mul_f64 v[30:31], v[74:75], s[2:3]
	v_add_f64 v[4:5], v[104:105], -v[78:79]
	v_add_f64 v[10:11], v[102:103], -v[94:95]
	;; [unrolled: 1-line block ×3, first 2 shown]
	v_add_f64 v[36:37], v[38:39], v[36:37]
	v_fma_f64 v[22:23], v[6:7], s[14:15], -v[131:132]
	v_fma_f64 v[6:7], v[6:7], s[10:11], -v[30:31]
	v_mul_f64 v[30:31], v[86:87], s[2:3]
	v_mul_f64 v[0:1], v[4:5], s[12:13]
	;; [unrolled: 1-line block ×3, first 2 shown]
	v_fma_f64 v[24:25], v[8:9], s[14:15], -v[133:134]
	v_fma_f64 v[4:5], v[4:5], s[12:13], -v[108:109]
	v_fma_f64 v[10:11], v[10:11], s[12:13], -v[152:153]
	ds_store_b128 v15, v[34:37] offset:30464
	s_mov_b32 s13, 0x3fee6f0e
	s_mov_b32 s2, 0x4755a5e
	;; [unrolled: 1-line block ×5, first 2 shown]
	v_add_f64 v[22:23], v[22:23], v[13:14]
	v_add_f64 v[13:14], v[6:7], v[13:14]
	v_fma_f64 v[8:9], v[8:9], s[10:11], -v[30:31]
	v_fma_f64 v[0:1], v[106:107], s[16:17], -v[0:1]
	;; [unrolled: 1-line block ×3, first 2 shown]
	v_add_f64 v[24:25], v[24:25], v[110:111]
	v_fma_f64 v[30:31], v[119:120], s[6:7], v[4:5]
	v_fma_f64 v[10:11], v[121:122], s[6:7], v[10:11]
	s_mov_b32 s10, 0x134454ff
	s_mov_b32 s11, 0xbfee6f0e
	;; [unrolled: 1-line block ×3, first 2 shown]
	v_add_f64 v[32:33], v[8:9], v[110:111]
	v_fma_f64 v[26:27], v[119:120], s[6:7], v[0:1]
	v_fma_f64 v[28:29], v[121:122], s[6:7], v[2:3]
	s_mov_b32 s7, 0x3fe2cf23
	s_mov_b32 s6, s2
	s_delay_alu instid0(VALU_DEP_4)
	v_add_f64 v[4:5], v[13:14], -v[10:11]
	v_add_f64 v[8:9], v[10:11], v[13:14]
	v_mov_b32_e32 v13, v165
	v_add_f64 v[6:7], v[30:31], v[32:33]
	v_add_f64 v[10:11], v[32:33], -v[30:31]
	v_add_f64 v[0:1], v[28:29], v[22:23]
	v_add_f64 v[2:3], v[24:25], -v[26:27]
	v_add_f64 v[22:23], v[22:23], -v[28:29]
	v_add_f64 v[24:25], v[26:27], v[24:25]
	v_add_f64 v[26:27], v[170:171], -v[168:169]
	v_add_f64 v[28:29], v[166:167], v[172:173]
	ds_store_b128 v214, v[4:7] offset:8960
	ds_store_b128 v214, v[8:11] offset:9856
	;; [unrolled: 1-line block ×5, first 2 shown]
	v_lshlrev_b64 v[0:1], 4, v[12:13]
	s_waitcnt lgkmcnt(0)
	s_barrier
	buffer_gl0_inv
	ds_load_b128 v[8:11], v192
	ds_load_b128 v[12:15], v218
	v_add_co_u32 v2, s1, s4, v0
	s_delay_alu instid0(VALU_DEP_1) | instskip(NEXT) | instid1(VALU_DEP_2)
	v_add_co_ci_u32_e64 v3, s1, s5, v1, s1
	v_add_co_u32 v0, s1, 0x1000, v2
	s_delay_alu instid0(VALU_DEP_1) | instskip(SKIP_1) | instid1(VALU_DEP_1)
	v_add_co_ci_u32_e64 v1, s1, 0, v3, s1
	v_add_co_u32 v22, s1, 0x1840, v2
	v_add_co_ci_u32_e64 v23, s1, 0, v3, s1
	s_clause 0x1
	global_load_b128 v[0:3], v[0:1], off offset:2112
	global_load_b128 v[4:7], v[22:23], off offset:48
	s_waitcnt vmcnt(1) lgkmcnt(1)
	v_mul_f64 v[24:25], v[10:11], v[2:3]
	v_mul_f64 v[2:3], v[8:9], v[2:3]
	s_delay_alu instid0(VALU_DEP_2) | instskip(NEXT) | instid1(VALU_DEP_2)
	v_fma_f64 v[46:47], v[8:9], v[0:1], v[24:25]
	v_fma_f64 v[48:49], v[10:11], v[0:1], -v[2:3]
	s_clause 0x1
	global_load_b128 v[0:3], v[22:23], off offset:16
	global_load_b128 v[8:11], v[22:23], off offset:32
	ds_load_b128 v[22:25], v214 offset:12544
	ds_load_b128 v[26:29], v214 offset:11648
	s_waitcnt vmcnt(1) lgkmcnt(1)
	v_mul_f64 v[30:31], v[24:25], v[2:3]
	v_mul_f64 v[2:3], v[22:23], v[2:3]
	s_delay_alu instid0(VALU_DEP_2) | instskip(NEXT) | instid1(VALU_DEP_2)
	v_fma_f64 v[50:51], v[22:23], v[0:1], v[30:31]
	v_fma_f64 v[52:53], v[24:25], v[0:1], -v[2:3]
	ds_load_b128 v[0:3], v214 offset:18816
	ds_load_b128 v[30:33], v214 offset:19712
	s_waitcnt vmcnt(0) lgkmcnt(1)
	v_mul_f64 v[22:23], v[2:3], v[10:11]
	s_delay_alu instid0(VALU_DEP_1) | instskip(SKIP_1) | instid1(VALU_DEP_1)
	v_fma_f64 v[54:55], v[0:1], v[8:9], v[22:23]
	v_mul_f64 v[0:1], v[0:1], v[10:11]
	v_fma_f64 v[56:57], v[2:3], v[8:9], -v[0:1]
	ds_load_b128 v[0:3], v214 offset:25088
	ds_load_b128 v[8:11], v214 offset:24192
	ds_load_b128 v[34:37], v214
	s_waitcnt lgkmcnt(2)
	v_mul_f64 v[22:23], v[2:3], v[6:7]
	s_delay_alu instid0(VALU_DEP_1) | instskip(SKIP_2) | instid1(VALU_DEP_2)
	v_fma_f64 v[58:59], v[0:1], v[4:5], v[22:23]
	v_mul_f64 v[0:1], v[0:1], v[6:7]
	v_mov_b32_e32 v22, v165
	v_fma_f64 v[60:61], v[2:3], v[4:5], -v[0:1]
	s_delay_alu instid0(VALU_DEP_2) | instskip(SKIP_2) | instid1(VALU_DEP_1)
	v_lshlrev_b64 v[0:1], 4, v[21:22]
	ds_load_b128 v[4:7], v214 offset:7168
	v_add_co_u32 v2, s1, s4, v0
	v_add_co_ci_u32_e64 v3, s1, s5, v1, s1
	s_delay_alu instid0(VALU_DEP_2) | instskip(NEXT) | instid1(VALU_DEP_1)
	v_add_co_u32 v0, s1, 0x1000, v2
	v_add_co_ci_u32_e64 v1, s1, 0, v3, s1
	v_add_co_u32 v38, s1, 0x1840, v2
	s_delay_alu instid0(VALU_DEP_1)
	v_add_co_ci_u32_e64 v39, s1, 0, v3, s1
	s_clause 0x1
	global_load_b128 v[0:3], v[0:1], off offset:2112
	global_load_b128 v[21:24], v[38:39], off offset:48
	s_waitcnt vmcnt(1) lgkmcnt(0)
	v_mul_f64 v[40:41], v[6:7], v[2:3]
	v_mul_f64 v[2:3], v[4:5], v[2:3]
	s_delay_alu instid0(VALU_DEP_2) | instskip(NEXT) | instid1(VALU_DEP_2)
	v_fma_f64 v[62:63], v[4:5], v[0:1], v[40:41]
	v_fma_f64 v[64:65], v[6:7], v[0:1], -v[2:3]
	s_clause 0x1
	global_load_b128 v[0:3], v[38:39], off offset:16
	global_load_b128 v[4:7], v[38:39], off offset:32
	ds_load_b128 v[38:41], v214 offset:13440
	ds_load_b128 v[42:45], v214 offset:14336
	s_waitcnt vmcnt(1) lgkmcnt(1)
	v_mul_f64 v[66:67], v[40:41], v[2:3]
	v_mul_f64 v[2:3], v[38:39], v[2:3]
	s_delay_alu instid0(VALU_DEP_2) | instskip(NEXT) | instid1(VALU_DEP_2)
	v_fma_f64 v[66:67], v[38:39], v[0:1], v[66:67]
	v_fma_f64 v[68:69], v[40:41], v[0:1], -v[2:3]
	s_waitcnt vmcnt(0)
	v_mul_f64 v[0:1], v[32:33], v[6:7]
	s_delay_alu instid0(VALU_DEP_1) | instskip(SKIP_1) | instid1(VALU_DEP_1)
	v_fma_f64 v[70:71], v[30:31], v[4:5], v[0:1]
	v_mul_f64 v[0:1], v[30:31], v[6:7]
	v_fma_f64 v[72:73], v[32:33], v[4:5], -v[0:1]
	ds_load_b128 v[0:3], v214 offset:25984
	ds_load_b128 v[4:7], v214 offset:26880
	ds_load_b128 v[38:41], v214 offset:8960
	s_waitcnt lgkmcnt(2)
	v_mul_f64 v[30:31], v[2:3], v[23:24]
	s_delay_alu instid0(VALU_DEP_1) | instskip(SKIP_1) | instid1(VALU_DEP_1)
	v_fma_f64 v[74:75], v[0:1], v[21:22], v[30:31]
	v_mul_f64 v[0:1], v[0:1], v[23:24]
	v_fma_f64 v[76:77], v[2:3], v[21:22], -v[0:1]
	v_mov_b32_e32 v21, v165
	s_delay_alu instid0(VALU_DEP_1) | instskip(SKIP_2) | instid1(VALU_DEP_1)
	v_lshlrev_b64 v[0:1], 4, v[20:21]
	ds_load_b128 v[20:23], v214 offset:8064
	v_add_co_u32 v2, s1, s4, v0
	v_add_co_ci_u32_e64 v3, s1, s5, v1, s1
	s_delay_alu instid0(VALU_DEP_2) | instskip(NEXT) | instid1(VALU_DEP_1)
	v_add_co_u32 v0, s1, 0x1000, v2
	v_add_co_ci_u32_e64 v1, s1, 0, v3, s1
	v_add_co_u32 v24, s1, 0x1840, v2
	s_delay_alu instid0(VALU_DEP_1)
	v_add_co_ci_u32_e64 v25, s1, 0, v3, s1
	s_clause 0x1
	global_load_b128 v[0:3], v[0:1], off offset:2112
	global_load_b128 v[30:33], v[24:25], off offset:48
	s_waitcnt vmcnt(1) lgkmcnt(0)
	v_mul_f64 v[78:79], v[22:23], v[2:3]
	v_mul_f64 v[2:3], v[20:21], v[2:3]
	s_delay_alu instid0(VALU_DEP_2) | instskip(NEXT) | instid1(VALU_DEP_2)
	v_fma_f64 v[78:79], v[20:21], v[0:1], v[78:79]
	v_fma_f64 v[80:81], v[22:23], v[0:1], -v[2:3]
	s_clause 0x1
	global_load_b128 v[0:3], v[24:25], off offset:16
	global_load_b128 v[20:23], v[24:25], off offset:32
	s_waitcnt vmcnt(1)
	v_mul_f64 v[24:25], v[44:45], v[2:3]
	v_mul_f64 v[2:3], v[42:43], v[2:3]
	s_delay_alu instid0(VALU_DEP_2) | instskip(NEXT) | instid1(VALU_DEP_2)
	v_fma_f64 v[82:83], v[42:43], v[0:1], v[24:25]
	v_fma_f64 v[86:87], v[44:45], v[0:1], -v[2:3]
	ds_load_b128 v[0:3], v214 offset:20608
	ds_load_b128 v[42:45], v214 offset:21504
	s_waitcnt vmcnt(0) lgkmcnt(1)
	v_mul_f64 v[24:25], v[2:3], v[22:23]
	s_delay_alu instid0(VALU_DEP_1) | instskip(SKIP_1) | instid1(VALU_DEP_1)
	v_fma_f64 v[88:89], v[0:1], v[20:21], v[24:25]
	v_mul_f64 v[0:1], v[0:1], v[22:23]
	v_fma_f64 v[90:91], v[2:3], v[20:21], -v[0:1]
	v_mul_f64 v[0:1], v[6:7], v[32:33]
	v_mov_b32_e32 v20, v165
	s_delay_alu instid0(VALU_DEP_2) | instskip(SKIP_1) | instid1(VALU_DEP_1)
	v_fma_f64 v[94:95], v[4:5], v[30:31], v[0:1]
	v_mul_f64 v[0:1], v[4:5], v[32:33]
	v_fma_f64 v[96:97], v[6:7], v[30:31], -v[0:1]
	s_delay_alu instid0(VALU_DEP_4) | instskip(NEXT) | instid1(VALU_DEP_1)
	v_lshlrev_b64 v[0:1], 4, v[19:20]
	v_add_co_u32 v2, s1, s4, v0
	s_delay_alu instid0(VALU_DEP_1) | instskip(NEXT) | instid1(VALU_DEP_2)
	v_add_co_ci_u32_e64 v3, s1, s5, v1, s1
	v_add_co_u32 v0, s1, 0x1000, v2
	s_delay_alu instid0(VALU_DEP_1) | instskip(SKIP_1) | instid1(VALU_DEP_1)
	v_add_co_ci_u32_e64 v1, s1, 0, v3, s1
	v_add_co_u32 v19, s1, 0x1840, v2
	v_add_co_ci_u32_e64 v20, s1, 0, v3, s1
	s_clause 0x1
	global_load_b128 v[0:3], v[0:1], off offset:2112
	global_load_b128 v[4:7], v[19:20], off offset:48
	s_waitcnt vmcnt(1)
	v_mul_f64 v[21:22], v[40:41], v[2:3]
	v_mul_f64 v[2:3], v[38:39], v[2:3]
	s_delay_alu instid0(VALU_DEP_2) | instskip(NEXT) | instid1(VALU_DEP_2)
	v_fma_f64 v[98:99], v[38:39], v[0:1], v[21:22]
	v_fma_f64 v[102:103], v[40:41], v[0:1], -v[2:3]
	s_clause 0x1
	global_load_b128 v[0:3], v[19:20], off offset:16
	global_load_b128 v[19:22], v[19:20], off offset:32
	ds_load_b128 v[30:33], v214 offset:15232
	ds_load_b128 v[38:41], v214 offset:16128
	s_waitcnt vmcnt(1) lgkmcnt(1)
	v_mul_f64 v[23:24], v[32:33], v[2:3]
	v_mul_f64 v[2:3], v[30:31], v[2:3]
	s_delay_alu instid0(VALU_DEP_2) | instskip(NEXT) | instid1(VALU_DEP_2)
	v_fma_f64 v[104:105], v[30:31], v[0:1], v[23:24]
	v_fma_f64 v[106:107], v[32:33], v[0:1], -v[2:3]
	s_waitcnt vmcnt(0)
	v_mul_f64 v[0:1], v[44:45], v[21:22]
	s_delay_alu instid0(VALU_DEP_1) | instskip(SKIP_1) | instid1(VALU_DEP_1)
	v_fma_f64 v[108:109], v[42:43], v[19:20], v[0:1]
	v_mul_f64 v[0:1], v[42:43], v[21:22]
	v_fma_f64 v[110:111], v[44:45], v[19:20], -v[0:1]
	ds_load_b128 v[0:3], v214 offset:27776
	ds_load_b128 v[20:23], v214 offset:28672
	v_mov_b32_e32 v19, v165
	ds_load_b128 v[42:45], v214 offset:10752
	s_waitcnt lgkmcnt(2)
	v_mul_f64 v[24:25], v[2:3], v[6:7]
	s_delay_alu instid0(VALU_DEP_1) | instskip(SKIP_1) | instid1(VALU_DEP_1)
	v_fma_f64 v[113:114], v[0:1], v[4:5], v[24:25]
	v_mul_f64 v[0:1], v[0:1], v[6:7]
	v_fma_f64 v[115:116], v[2:3], v[4:5], -v[0:1]
	v_lshlrev_b64 v[0:1], 4, v[18:19]
	ds_load_b128 v[4:7], v214 offset:9856
	v_add_co_u32 v2, s1, s4, v0
	s_delay_alu instid0(VALU_DEP_1) | instskip(NEXT) | instid1(VALU_DEP_2)
	v_add_co_ci_u32_e64 v3, s1, s5, v1, s1
	v_add_co_u32 v0, s1, 0x1000, v2
	s_delay_alu instid0(VALU_DEP_1) | instskip(SKIP_1) | instid1(VALU_DEP_1)
	v_add_co_ci_u32_e64 v1, s1, 0, v3, s1
	v_add_co_u32 v18, s1, 0x1840, v2
	v_add_co_ci_u32_e64 v19, s1, 0, v3, s1
	s_clause 0x1
	global_load_b128 v[0:3], v[0:1], off offset:2112
	global_load_b128 v[30:33], v[18:19], off offset:48
	s_waitcnt vmcnt(1) lgkmcnt(0)
	v_mul_f64 v[24:25], v[6:7], v[2:3]
	v_mul_f64 v[2:3], v[4:5], v[2:3]
	s_delay_alu instid0(VALU_DEP_2) | instskip(NEXT) | instid1(VALU_DEP_2)
	v_fma_f64 v[117:118], v[4:5], v[0:1], v[24:25]
	v_fma_f64 v[119:120], v[6:7], v[0:1], -v[2:3]
	s_clause 0x1
	global_load_b128 v[0:3], v[18:19], off offset:16
	global_load_b128 v[4:7], v[18:19], off offset:32
	s_waitcnt vmcnt(1)
	v_mul_f64 v[18:19], v[40:41], v[2:3]
	v_mul_f64 v[2:3], v[38:39], v[2:3]
	s_delay_alu instid0(VALU_DEP_2) | instskip(NEXT) | instid1(VALU_DEP_2)
	v_fma_f64 v[121:122], v[38:39], v[0:1], v[18:19]
	v_fma_f64 v[123:124], v[40:41], v[0:1], -v[2:3]
	ds_load_b128 v[0:3], v214 offset:22400
	ds_load_b128 v[38:41], v214 offset:23296
	s_waitcnt vmcnt(0) lgkmcnt(1)
	v_mul_f64 v[18:19], v[2:3], v[6:7]
	s_delay_alu instid0(VALU_DEP_1) | instskip(SKIP_2) | instid1(VALU_DEP_2)
	v_fma_f64 v[125:126], v[0:1], v[4:5], v[18:19]
	v_mul_f64 v[0:1], v[0:1], v[6:7]
	v_mov_b32_e32 v18, v165
	v_fma_f64 v[127:128], v[2:3], v[4:5], -v[0:1]
	v_mul_f64 v[0:1], v[22:23], v[32:33]
	s_delay_alu instid0(VALU_DEP_1) | instskip(SKIP_1) | instid1(VALU_DEP_1)
	v_fma_f64 v[129:130], v[20:21], v[30:31], v[0:1]
	v_mul_f64 v[0:1], v[20:21], v[32:33]
	v_fma_f64 v[131:132], v[22:23], v[30:31], -v[0:1]
	v_lshlrev_b64 v[0:1], 4, v[17:18]
	s_delay_alu instid0(VALU_DEP_1) | instskip(NEXT) | instid1(VALU_DEP_1)
	v_add_co_u32 v2, s1, s4, v0
	v_add_co_ci_u32_e64 v3, s1, s5, v1, s1
	s_delay_alu instid0(VALU_DEP_2) | instskip(NEXT) | instid1(VALU_DEP_1)
	v_add_co_u32 v0, s1, 0x1000, v2
	v_add_co_ci_u32_e64 v1, s1, 0, v3, s1
	v_add_co_u32 v17, s1, 0x1840, v2
	s_delay_alu instid0(VALU_DEP_1)
	v_add_co_ci_u32_e64 v18, s1, 0, v3, s1
	s_clause 0x1
	global_load_b128 v[0:3], v[0:1], off offset:2112
	global_load_b128 v[4:7], v[17:18], off offset:48
	s_waitcnt vmcnt(1)
	v_mul_f64 v[19:20], v[44:45], v[2:3]
	v_mul_f64 v[2:3], v[42:43], v[2:3]
	s_delay_alu instid0(VALU_DEP_2) | instskip(NEXT) | instid1(VALU_DEP_2)
	v_fma_f64 v[133:134], v[42:43], v[0:1], v[19:20]
	v_fma_f64 v[135:136], v[44:45], v[0:1], -v[2:3]
	s_clause 0x1
	global_load_b128 v[0:3], v[17:18], off offset:16
	global_load_b128 v[17:20], v[17:18], off offset:32
	ds_load_b128 v[21:24], v214 offset:17024
	ds_load_b128 v[30:33], v214 offset:17920
	s_waitcnt vmcnt(1) lgkmcnt(1)
	v_mul_f64 v[42:43], v[23:24], v[2:3]
	v_mul_f64 v[2:3], v[21:22], v[2:3]
	s_delay_alu instid0(VALU_DEP_2) | instskip(NEXT) | instid1(VALU_DEP_2)
	v_fma_f64 v[137:138], v[21:22], v[0:1], v[42:43]
	v_fma_f64 v[139:140], v[23:24], v[0:1], -v[2:3]
	s_waitcnt vmcnt(0)
	v_mul_f64 v[0:1], v[40:41], v[19:20]
	s_delay_alu instid0(VALU_DEP_1) | instskip(SKIP_1) | instid1(VALU_DEP_2)
	v_fma_f64 v[141:142], v[38:39], v[17:18], v[0:1]
	v_mul_f64 v[0:1], v[38:39], v[19:20]
	v_add_f64 v[190:191], v[137:138], -v[141:142]
	s_delay_alu instid0(VALU_DEP_2)
	v_fma_f64 v[152:153], v[40:41], v[17:18], -v[0:1]
	ds_load_b128 v[0:3], v214 offset:29568
	ds_load_b128 v[17:20], v214 offset:30464
	s_waitcnt lgkmcnt(1)
	v_mul_f64 v[21:22], v[2:3], v[6:7]
	v_add_f64 v[170:171], v[139:140], -v[152:153]
	s_delay_alu instid0(VALU_DEP_2) | instskip(SKIP_1) | instid1(VALU_DEP_2)
	v_fma_f64 v[166:167], v[0:1], v[4:5], v[21:22]
	v_mul_f64 v[0:1], v[0:1], v[6:7]
	v_add_f64 v[188:189], v[133:134], -v[166:167]
	s_delay_alu instid0(VALU_DEP_2) | instskip(SKIP_2) | instid1(VALU_DEP_2)
	v_fma_f64 v[168:169], v[2:3], v[4:5], -v[0:1]
	v_lshlrev_b64 v[0:1], 4, v[164:165]
	v_add_f64 v[164:165], v[121:122], -v[125:126]
	v_add_co_u32 v2, s1, s4, v0
	s_delay_alu instid0(VALU_DEP_1) | instskip(NEXT) | instid1(VALU_DEP_2)
	v_add_co_ci_u32_e64 v3, s1, s5, v1, s1
	v_add_co_u32 v0, s1, 0x1000, v2
	s_delay_alu instid0(VALU_DEP_1) | instskip(SKIP_1) | instid1(VALU_DEP_1)
	v_add_co_ci_u32_e64 v1, s1, 0, v3, s1
	v_add_co_u32 v21, s1, 0x1840, v2
	v_add_co_ci_u32_e64 v22, s1, 0, v3, s1
	s_clause 0x1
	global_load_b128 v[0:3], v[0:1], off offset:2112
	global_load_b128 v[4:7], v[21:22], off offset:48
	s_waitcnt vmcnt(1)
	v_mul_f64 v[23:24], v[28:29], v[2:3]
	v_mul_f64 v[2:3], v[26:27], v[2:3]
	s_delay_alu instid0(VALU_DEP_2) | instskip(NEXT) | instid1(VALU_DEP_2)
	v_fma_f64 v[172:173], v[26:27], v[0:1], v[23:24]
	v_fma_f64 v[174:175], v[28:29], v[0:1], -v[2:3]
	s_clause 0x1
	global_load_b128 v[0:3], v[21:22], off offset:16
	global_load_b128 v[21:24], v[21:22], off offset:32
	s_waitcnt vmcnt(1)
	v_mul_f64 v[25:26], v[32:33], v[2:3]
	v_mul_f64 v[2:3], v[30:31], v[2:3]
	s_delay_alu instid0(VALU_DEP_2) | instskip(NEXT) | instid1(VALU_DEP_2)
	v_fma_f64 v[176:177], v[30:31], v[0:1], v[25:26]
	v_fma_f64 v[178:179], v[32:33], v[0:1], -v[2:3]
	s_waitcnt vmcnt(0)
	v_mul_f64 v[0:1], v[10:11], v[23:24]
	v_add_f64 v[2:3], v[58:59], -v[54:55]
	v_add_f64 v[29:30], v[50:51], -v[46:47]
	;; [unrolled: 1-line block ×3, first 2 shown]
	s_delay_alu instid0(VALU_DEP_4) | instskip(SKIP_2) | instid1(VALU_DEP_2)
	v_fma_f64 v[180:181], v[8:9], v[21:22], v[0:1]
	v_mul_f64 v[0:1], v[8:9], v[23:24]
	v_add_f64 v[23:24], v[50:51], -v[54:55]
	v_fma_f64 v[182:183], v[10:11], v[21:22], -v[0:1]
	s_waitcnt lgkmcnt(0)
	v_mul_f64 v[0:1], v[19:20], v[6:7]
	v_add_f64 v[21:22], v[46:47], -v[58:59]
	s_delay_alu instid0(VALU_DEP_2) | instskip(SKIP_2) | instid1(VALU_DEP_2)
	v_fma_f64 v[184:185], v[17:18], v[4:5], v[0:1]
	v_mul_f64 v[0:1], v[17:18], v[6:7]
	v_add_f64 v[17:18], v[48:49], -v[60:61]
	v_fma_f64 v[186:187], v[19:20], v[4:5], -v[0:1]
	v_add_f64 v[0:1], v[46:47], -v[50:51]
	v_add_f64 v[19:20], v[52:53], -v[56:57]
	s_delay_alu instid0(VALU_DEP_2) | instskip(SKIP_2) | instid1(VALU_DEP_1)
	v_add_f64 v[4:5], v[0:1], v[2:3]
	v_add_f64 v[0:1], v[48:49], -v[52:53]
	v_add_f64 v[2:3], v[60:61], -v[56:57]
	v_add_f64 v[6:7], v[0:1], v[2:3]
	v_add_f64 v[0:1], v[50:51], v[54:55]
	s_delay_alu instid0(VALU_DEP_1) | instskip(SKIP_1) | instid1(VALU_DEP_1)
	v_fma_f64 v[8:9], v[0:1], -0.5, v[34:35]
	v_add_f64 v[0:1], v[52:53], v[56:57]
	v_fma_f64 v[10:11], v[0:1], -0.5, v[36:37]
	s_delay_alu instid0(VALU_DEP_3) | instskip(SKIP_1) | instid1(VALU_DEP_3)
	v_fma_f64 v[0:1], v[17:18], s[10:11], v[8:9]
	v_fma_f64 v[8:9], v[17:18], s[12:13], v[8:9]
	;; [unrolled: 1-line block ×3, first 2 shown]
	s_delay_alu instid0(VALU_DEP_3) | instskip(NEXT) | instid1(VALU_DEP_3)
	v_fma_f64 v[0:1], v[19:20], s[2:3], v[0:1]
	v_fma_f64 v[8:9], v[19:20], s[6:7], v[8:9]
	;; [unrolled: 1-line block ×3, first 2 shown]
	s_delay_alu instid0(VALU_DEP_4) | instskip(NEXT) | instid1(VALU_DEP_4)
	v_fma_f64 v[2:3], v[23:24], s[6:7], v[2:3]
	v_fma_f64 v[0:1], v[4:5], s[14:15], v[0:1]
	s_delay_alu instid0(VALU_DEP_4) | instskip(SKIP_3) | instid1(VALU_DEP_3)
	v_fma_f64 v[4:5], v[4:5], s[14:15], v[8:9]
	v_add_f64 v[8:9], v[46:47], v[58:59]
	v_fma_f64 v[10:11], v[23:24], s[2:3], v[10:11]
	v_fma_f64 v[2:3], v[6:7], s[14:15], v[2:3]
	v_fma_f64 v[25:26], v[8:9], -0.5, v[34:35]
	v_add_f64 v[8:9], v[48:49], v[60:61]
	s_delay_alu instid0(VALU_DEP_4) | instskip(SKIP_1) | instid1(VALU_DEP_3)
	v_fma_f64 v[6:7], v[6:7], s[14:15], v[10:11]
	v_add_f64 v[10:11], v[36:37], v[48:49]
	v_fma_f64 v[27:28], v[8:9], -0.5, v[36:37]
	v_add_f64 v[8:9], v[34:35], v[46:47]
	v_add_f64 v[33:34], v[54:55], -v[58:59]
	v_add_f64 v[35:36], v[56:57], -v[60:61]
	v_fma_f64 v[37:38], v[19:20], s[12:13], v[25:26]
	v_fma_f64 v[19:20], v[19:20], s[10:11], v[25:26]
	v_add_f64 v[45:46], v[64:65], -v[76:77]
	v_add_f64 v[10:11], v[10:11], v[52:53]
	v_add_f64 v[47:48], v[68:69], -v[72:73]
	v_fma_f64 v[25:26], v[23:24], s[10:11], v[27:28]
	v_fma_f64 v[23:24], v[23:24], s[12:13], v[27:28]
	v_add_f64 v[27:28], v[29:30], v[33:34]
	v_add_f64 v[29:30], v[31:32], v[35:36]
	v_fma_f64 v[31:32], v[17:18], s[2:3], v[37:38]
	v_fma_f64 v[33:34], v[17:18], s[6:7], v[19:20]
	v_add_f64 v[8:9], v[8:9], v[50:51]
	v_add_f64 v[49:50], v[62:63], -v[74:75]
	v_add_f64 v[51:52], v[66:67], -v[70:71]
	v_add_f64 v[10:11], v[10:11], v[56:57]
	v_fma_f64 v[19:20], v[21:22], s[6:7], v[25:26]
	v_fma_f64 v[23:24], v[21:22], s[2:3], v[23:24]
	v_add_f64 v[25:26], v[62:63], -v[66:67]
	v_fma_f64 v[17:18], v[27:28], s[14:15], v[31:32]
	v_fma_f64 v[21:22], v[27:28], s[14:15], v[33:34]
	v_add_f64 v[27:28], v[74:75], -v[70:71]
	v_add_f64 v[33:34], v[66:67], v[70:71]
	v_add_f64 v[8:9], v[8:9], v[54:55]
	;; [unrolled: 1-line block ×3, first 2 shown]
	v_add_f64 v[53:54], v[66:67], -v[62:63]
	v_add_f64 v[55:56], v[68:69], -v[64:65]
	v_fma_f64 v[19:20], v[29:30], s[14:15], v[19:20]
	v_fma_f64 v[23:24], v[29:30], s[14:15], v[23:24]
	v_add_f64 v[37:38], v[25:26], v[27:28]
	v_add_f64 v[25:26], v[64:65], -v[68:69]
	v_add_f64 v[27:28], v[76:77], -v[72:73]
	v_add_f64 v[8:9], v[8:9], v[58:59]
	v_add_f64 v[57:58], v[70:71], -v[74:75]
	v_add_f64 v[59:60], v[72:73], -v[76:77]
	s_delay_alu instid0(VALU_DEP_4)
	v_add_f64 v[39:40], v[25:26], v[27:28]
	ds_load_b128 v[25:28], v215
	ds_load_b128 v[29:32], v151
	s_waitcnt lgkmcnt(1)
	v_fma_f64 v[41:42], v[33:34], -0.5, v[25:26]
	v_add_f64 v[33:34], v[68:69], v[72:73]
	s_delay_alu instid0(VALU_DEP_1) | instskip(NEXT) | instid1(VALU_DEP_3)
	v_fma_f64 v[43:44], v[33:34], -0.5, v[27:28]
	v_fma_f64 v[33:34], v[45:46], s[10:11], v[41:42]
	v_fma_f64 v[41:42], v[45:46], s[12:13], v[41:42]
	s_delay_alu instid0(VALU_DEP_3) | instskip(SKIP_1) | instid1(VALU_DEP_4)
	v_fma_f64 v[35:36], v[49:50], s[12:13], v[43:44]
	v_fma_f64 v[43:44], v[49:50], s[10:11], v[43:44]
	;; [unrolled: 1-line block ×3, first 2 shown]
	s_delay_alu instid0(VALU_DEP_4) | instskip(NEXT) | instid1(VALU_DEP_4)
	v_fma_f64 v[41:42], v[47:48], s[6:7], v[41:42]
	v_fma_f64 v[35:36], v[51:52], s[6:7], v[35:36]
	s_delay_alu instid0(VALU_DEP_4) | instskip(NEXT) | instid1(VALU_DEP_4)
	v_fma_f64 v[43:44], v[51:52], s[2:3], v[43:44]
	v_fma_f64 v[33:34], v[37:38], s[14:15], v[33:34]
	s_delay_alu instid0(VALU_DEP_4) | instskip(SKIP_4) | instid1(VALU_DEP_4)
	v_fma_f64 v[37:38], v[37:38], s[14:15], v[41:42]
	v_add_f64 v[41:42], v[62:63], v[74:75]
	v_fma_f64 v[35:36], v[39:40], s[14:15], v[35:36]
	v_fma_f64 v[39:40], v[39:40], s[14:15], v[43:44]
	v_add_f64 v[43:44], v[64:65], v[76:77]
	v_fma_f64 v[41:42], v[41:42], -0.5, v[25:26]
	v_add_f64 v[25:26], v[25:26], v[62:63]
	s_delay_alu instid0(VALU_DEP_3) | instskip(SKIP_1) | instid1(VALU_DEP_4)
	v_fma_f64 v[43:44], v[43:44], -0.5, v[27:28]
	v_add_f64 v[27:28], v[27:28], v[64:65]
	v_fma_f64 v[61:62], v[47:48], s[12:13], v[41:42]
	v_fma_f64 v[41:42], v[47:48], s[10:11], v[41:42]
	v_add_f64 v[25:26], v[25:26], v[66:67]
	v_add_f64 v[65:66], v[78:79], -v[94:95]
	v_add_f64 v[63:64], v[86:87], -v[90:91]
	v_fma_f64 v[47:48], v[51:52], s[10:11], v[43:44]
	v_fma_f64 v[43:44], v[51:52], s[12:13], v[43:44]
	v_add_f64 v[51:52], v[53:54], v[57:58]
	v_add_f64 v[53:54], v[55:56], v[59:60]
	v_fma_f64 v[55:56], v[45:46], s[2:3], v[61:62]
	v_fma_f64 v[45:46], v[45:46], s[6:7], v[41:42]
	v_add_f64 v[61:62], v[80:81], -v[96:97]
	v_add_f64 v[27:28], v[27:28], v[68:69]
	v_add_f64 v[67:68], v[82:83], -v[88:89]
	v_add_f64 v[25:26], v[25:26], v[70:71]
	v_add_f64 v[69:70], v[82:83], -v[78:79]
	v_fma_f64 v[47:48], v[49:50], s[6:7], v[47:48]
	v_fma_f64 v[49:50], v[49:50], s[2:3], v[43:44]
	;; [unrolled: 1-line block ×4, first 2 shown]
	v_add_f64 v[51:52], v[94:95], -v[88:89]
	v_add_f64 v[27:28], v[27:28], v[72:73]
	v_add_f64 v[71:72], v[86:87], -v[80:81]
	v_add_f64 v[25:26], v[25:26], v[74:75]
	v_add_f64 v[73:74], v[88:89], -v[94:95]
	v_fma_f64 v[43:44], v[53:54], s[14:15], v[47:48]
	v_fma_f64 v[47:48], v[53:54], s[14:15], v[49:50]
	v_add_f64 v[49:50], v[78:79], -v[82:83]
	v_add_f64 v[27:28], v[27:28], v[76:77]
	v_add_f64 v[75:76], v[90:91], -v[96:97]
	s_delay_alu instid0(VALU_DEP_3) | instskip(SKIP_2) | instid1(VALU_DEP_1)
	v_add_f64 v[53:54], v[49:50], v[51:52]
	v_add_f64 v[49:50], v[80:81], -v[86:87]
	v_add_f64 v[51:52], v[96:97], -v[90:91]
	v_add_f64 v[55:56], v[49:50], v[51:52]
	v_add_f64 v[49:50], v[82:83], v[88:89]
	s_waitcnt lgkmcnt(0)
	s_delay_alu instid0(VALU_DEP_1) | instskip(SKIP_1) | instid1(VALU_DEP_1)
	v_fma_f64 v[57:58], v[49:50], -0.5, v[29:30]
	v_add_f64 v[49:50], v[86:87], v[90:91]
	v_fma_f64 v[59:60], v[49:50], -0.5, v[31:32]
	s_delay_alu instid0(VALU_DEP_3) | instskip(SKIP_1) | instid1(VALU_DEP_3)
	v_fma_f64 v[49:50], v[61:62], s[10:11], v[57:58]
	v_fma_f64 v[57:58], v[61:62], s[12:13], v[57:58]
	;; [unrolled: 1-line block ×4, first 2 shown]
	s_delay_alu instid0(VALU_DEP_4) | instskip(NEXT) | instid1(VALU_DEP_4)
	v_fma_f64 v[49:50], v[63:64], s[2:3], v[49:50]
	v_fma_f64 v[57:58], v[63:64], s[6:7], v[57:58]
	s_delay_alu instid0(VALU_DEP_4) | instskip(NEXT) | instid1(VALU_DEP_4)
	v_fma_f64 v[51:52], v[67:68], s[6:7], v[51:52]
	v_fma_f64 v[59:60], v[67:68], s[2:3], v[59:60]
	;; [unrolled: 3-line block ×3, first 2 shown]
	v_add_f64 v[57:58], v[78:79], v[94:95]
	v_fma_f64 v[51:52], v[55:56], s[14:15], v[51:52]
	v_fma_f64 v[55:56], v[55:56], s[14:15], v[59:60]
	v_add_f64 v[59:60], v[80:81], v[96:97]
	s_delay_alu instid0(VALU_DEP_4) | instskip(SKIP_1) | instid1(VALU_DEP_3)
	v_fma_f64 v[57:58], v[57:58], -0.5, v[29:30]
	v_add_f64 v[29:30], v[29:30], v[78:79]
	v_fma_f64 v[59:60], v[59:60], -0.5, v[31:32]
	v_add_f64 v[31:32], v[31:32], v[80:81]
	s_delay_alu instid0(VALU_DEP_4)
	v_fma_f64 v[77:78], v[63:64], s[12:13], v[57:58]
	v_fma_f64 v[57:58], v[63:64], s[10:11], v[57:58]
	v_add_f64 v[29:30], v[29:30], v[82:83]
	v_fma_f64 v[63:64], v[67:68], s[10:11], v[59:60]
	v_fma_f64 v[59:60], v[67:68], s[12:13], v[59:60]
	v_add_f64 v[67:68], v[69:70], v[73:74]
	v_add_f64 v[69:70], v[71:72], v[75:76]
	v_fma_f64 v[71:72], v[61:62], s[2:3], v[77:78]
	v_fma_f64 v[61:62], v[61:62], s[6:7], v[57:58]
	v_add_f64 v[73:74], v[104:105], v[108:109]
	v_add_f64 v[31:32], v[31:32], v[86:87]
	;; [unrolled: 1-line block ×3, first 2 shown]
	v_add_f64 v[88:89], v[102:103], -v[115:116]
	v_fma_f64 v[63:64], v[65:66], s[6:7], v[63:64]
	v_fma_f64 v[65:66], v[65:66], s[2:3], v[59:60]
	;; [unrolled: 1-line block ×4, first 2 shown]
	v_add_f64 v[67:68], v[113:114], -v[108:109]
	v_add_f64 v[31:32], v[31:32], v[90:91]
	v_add_f64 v[29:30], v[29:30], v[94:95]
	v_add_f64 v[90:91], v[106:107], -v[110:111]
	v_add_f64 v[94:95], v[98:99], -v[113:114]
	v_fma_f64 v[59:60], v[69:70], s[14:15], v[63:64]
	v_fma_f64 v[63:64], v[69:70], s[14:15], v[65:66]
	v_add_f64 v[65:66], v[98:99], -v[104:105]
	v_add_f64 v[31:32], v[31:32], v[96:97]
	v_add_f64 v[96:97], v[104:105], -v[108:109]
	s_delay_alu instid0(VALU_DEP_3) | instskip(SKIP_2) | instid1(VALU_DEP_1)
	v_add_f64 v[77:78], v[65:66], v[67:68]
	v_add_f64 v[65:66], v[102:103], -v[106:107]
	v_add_f64 v[67:68], v[115:116], -v[110:111]
	v_add_f64 v[79:80], v[65:66], v[67:68]
	ds_load_b128 v[65:68], v149
	ds_load_b128 v[69:72], v147
	s_waitcnt lgkmcnt(1)
	v_fma_f64 v[81:82], v[73:74], -0.5, v[65:66]
	v_add_f64 v[73:74], v[106:107], v[110:111]
	s_delay_alu instid0(VALU_DEP_1) | instskip(NEXT) | instid1(VALU_DEP_3)
	v_fma_f64 v[86:87], v[73:74], -0.5, v[67:68]
	v_fma_f64 v[73:74], v[88:89], s[10:11], v[81:82]
	v_fma_f64 v[81:82], v[88:89], s[12:13], v[81:82]
	s_delay_alu instid0(VALU_DEP_3) | instskip(NEXT) | instid1(VALU_DEP_3)
	v_fma_f64 v[75:76], v[94:95], s[12:13], v[86:87]
	v_fma_f64 v[73:74], v[90:91], s[2:3], v[73:74]
	;; [unrolled: 1-line block ×3, first 2 shown]
	s_delay_alu instid0(VALU_DEP_4) | instskip(NEXT) | instid1(VALU_DEP_4)
	v_fma_f64 v[81:82], v[90:91], s[6:7], v[81:82]
	v_fma_f64 v[75:76], v[96:97], s[6:7], v[75:76]
	s_delay_alu instid0(VALU_DEP_4) | instskip(NEXT) | instid1(VALU_DEP_4)
	v_fma_f64 v[73:74], v[77:78], s[14:15], v[73:74]
	v_fma_f64 v[86:87], v[96:97], s[2:3], v[86:87]
	s_delay_alu instid0(VALU_DEP_4) | instskip(SKIP_2) | instid1(VALU_DEP_4)
	v_fma_f64 v[77:78], v[77:78], s[14:15], v[81:82]
	v_add_f64 v[81:82], v[98:99], v[113:114]
	v_fma_f64 v[75:76], v[79:80], s[14:15], v[75:76]
	v_fma_f64 v[79:80], v[79:80], s[14:15], v[86:87]
	v_add_f64 v[86:87], v[102:103], v[115:116]
	s_delay_alu instid0(VALU_DEP_4) | instskip(SKIP_2) | instid1(VALU_DEP_4)
	v_fma_f64 v[81:82], v[81:82], -0.5, v[65:66]
	v_add_f64 v[65:66], v[65:66], v[98:99]
	v_add_f64 v[98:99], v[104:105], -v[98:99]
	v_fma_f64 v[86:87], v[86:87], -0.5, v[67:68]
	v_add_f64 v[67:68], v[67:68], v[102:103]
	s_delay_alu instid0(VALU_DEP_4) | instskip(SKIP_2) | instid1(VALU_DEP_4)
	v_add_f64 v[65:66], v[65:66], v[104:105]
	v_add_f64 v[102:103], v[106:107], -v[102:103]
	v_add_f64 v[104:105], v[108:109], -v[113:114]
	v_add_f64 v[67:68], v[67:68], v[106:107]
	s_delay_alu instid0(VALU_DEP_4)
	v_add_f64 v[65:66], v[65:66], v[108:109]
	v_add_f64 v[106:107], v[110:111], -v[115:116]
	v_fma_f64 v[108:109], v[90:91], s[12:13], v[81:82]
	v_fma_f64 v[81:82], v[90:91], s[10:11], v[81:82]
	;; [unrolled: 1-line block ×4, first 2 shown]
	v_add_f64 v[96:97], v[98:99], v[104:105]
	v_add_f64 v[67:68], v[67:68], v[110:111]
	v_add_f64 v[110:111], v[119:120], -v[131:132]
	v_add_f64 v[98:99], v[102:103], v[106:107]
	v_fma_f64 v[102:103], v[88:89], s[2:3], v[108:109]
	v_fma_f64 v[81:82], v[88:89], s[6:7], v[81:82]
	;; [unrolled: 1-line block ×4, first 2 shown]
	v_add_f64 v[65:66], v[65:66], v[113:114]
	v_add_f64 v[113:114], v[123:124], -v[127:128]
	v_add_f64 v[67:68], v[67:68], v[115:116]
	v_add_f64 v[115:116], v[117:118], -v[129:130]
	v_fma_f64 v[86:87], v[96:97], s[14:15], v[102:103]
	v_fma_f64 v[94:95], v[96:97], s[14:15], v[81:82]
	v_add_f64 v[81:82], v[117:118], -v[121:122]
	v_fma_f64 v[96:97], v[98:99], s[14:15], v[90:91]
	v_add_f64 v[90:91], v[129:130], -v[125:126]
	;; [unrolled: 2-line block ×3, first 2 shown]
	v_add_f64 v[102:103], v[123:124], v[127:128]
	s_delay_alu instid0(VALU_DEP_4) | instskip(SKIP_2) | instid1(VALU_DEP_3)
	v_add_f64 v[81:82], v[81:82], v[90:91]
	v_add_f64 v[90:91], v[119:120], -v[123:124]
	s_waitcnt lgkmcnt(0)
	v_fma_f64 v[106:107], v[102:103], -0.5, v[71:72]
	s_delay_alu instid0(VALU_DEP_2) | instskip(SKIP_1) | instid1(VALU_DEP_3)
	v_add_f64 v[90:91], v[90:91], v[98:99]
	v_add_f64 v[98:99], v[121:122], v[125:126]
	v_fma_f64 v[104:105], v[115:116], s[12:13], v[106:107]
	v_fma_f64 v[106:107], v[115:116], s[10:11], v[106:107]
	s_delay_alu instid0(VALU_DEP_3) | instskip(NEXT) | instid1(VALU_DEP_3)
	v_fma_f64 v[98:99], v[98:99], -0.5, v[69:70]
	v_fma_f64 v[104:105], v[164:165], s[6:7], v[104:105]
	s_delay_alu instid0(VALU_DEP_3) | instskip(NEXT) | instid1(VALU_DEP_3)
	v_fma_f64 v[108:109], v[164:165], s[2:3], v[106:107]
	v_fma_f64 v[102:103], v[110:111], s[10:11], v[98:99]
	;; [unrolled: 1-line block ×3, first 2 shown]
	s_delay_alu instid0(VALU_DEP_4) | instskip(NEXT) | instid1(VALU_DEP_4)
	v_fma_f64 v[104:105], v[90:91], s[14:15], v[104:105]
	v_fma_f64 v[108:109], v[90:91], s[14:15], v[108:109]
	v_add_f64 v[90:91], v[119:120], v[131:132]
	v_fma_f64 v[102:103], v[113:114], s[2:3], v[102:103]
	v_fma_f64 v[98:99], v[113:114], s[6:7], v[98:99]
	s_delay_alu instid0(VALU_DEP_3) | instskip(SKIP_1) | instid1(VALU_DEP_4)
	v_fma_f64 v[90:91], v[90:91], -0.5, v[71:72]
	v_add_f64 v[71:72], v[71:72], v[119:120]
	v_fma_f64 v[102:103], v[81:82], s[14:15], v[102:103]
	s_delay_alu instid0(VALU_DEP_4) | instskip(SKIP_3) | instid1(VALU_DEP_3)
	v_fma_f64 v[106:107], v[81:82], s[14:15], v[98:99]
	v_add_f64 v[81:82], v[117:118], v[129:130]
	v_add_f64 v[98:99], v[121:122], -v[117:118]
	v_add_f64 v[71:72], v[71:72], v[123:124]
	v_fma_f64 v[81:82], v[81:82], -0.5, v[69:70]
	v_add_f64 v[69:70], v[69:70], v[117:118]
	v_add_f64 v[117:118], v[123:124], -v[119:120]
	v_add_f64 v[119:120], v[125:126], -v[129:130]
	v_add_f64 v[71:72], v[71:72], v[127:128]
	v_fma_f64 v[123:124], v[113:114], s[12:13], v[81:82]
	v_add_f64 v[69:70], v[69:70], v[121:122]
	v_add_f64 v[121:122], v[127:128], -v[131:132]
	v_fma_f64 v[81:82], v[113:114], s[10:11], v[81:82]
	v_fma_f64 v[113:114], v[164:165], s[10:11], v[90:91]
	;; [unrolled: 1-line block ×3, first 2 shown]
	v_add_f64 v[98:99], v[98:99], v[119:120]
	v_add_f64 v[164:165], v[135:136], -v[168:169]
	v_add_f64 v[71:72], v[71:72], v[131:132]
	v_add_f64 v[69:70], v[69:70], v[125:126]
	;; [unrolled: 1-line block ×3, first 2 shown]
	v_fma_f64 v[117:118], v[110:111], s[2:3], v[123:124]
	v_fma_f64 v[81:82], v[110:111], s[6:7], v[81:82]
	v_fma_f64 v[110:111], v[115:116], s[6:7], v[113:114]
	v_fma_f64 v[90:91], v[115:116], s[2:3], v[90:91]
	ds_load_b128 v[121:124], v143
	s_waitcnt lgkmcnt(0)
	s_barrier
	buffer_gl0_inv
	v_add_f64 v[69:70], v[69:70], v[129:130]
	v_fma_f64 v[113:114], v[98:99], s[14:15], v[117:118]
	v_fma_f64 v[117:118], v[98:99], s[14:15], v[81:82]
	;; [unrolled: 1-line block ×4, first 2 shown]
	v_add_f64 v[81:82], v[133:134], -v[137:138]
	v_add_f64 v[90:91], v[166:167], -v[141:142]
	;; [unrolled: 1-line block ×3, first 2 shown]
	v_add_f64 v[110:111], v[139:140], v[152:153]
	s_delay_alu instid0(VALU_DEP_3) | instskip(SKIP_1) | instid1(VALU_DEP_3)
	v_add_f64 v[81:82], v[81:82], v[90:91]
	v_add_f64 v[90:91], v[135:136], -v[139:140]
	v_fma_f64 v[110:111], v[110:111], -0.5, v[123:124]
	s_delay_alu instid0(VALU_DEP_2) | instskip(SKIP_1) | instid1(VALU_DEP_3)
	v_add_f64 v[90:91], v[90:91], v[98:99]
	v_add_f64 v[98:99], v[137:138], v[141:142]
	v_fma_f64 v[127:128], v[188:189], s[12:13], v[110:111]
	v_fma_f64 v[110:111], v[188:189], s[10:11], v[110:111]
	s_delay_alu instid0(VALU_DEP_3) | instskip(NEXT) | instid1(VALU_DEP_3)
	v_fma_f64 v[98:99], v[98:99], -0.5, v[121:122]
	v_fma_f64 v[127:128], v[190:191], s[6:7], v[127:128]
	s_delay_alu instid0(VALU_DEP_3) | instskip(NEXT) | instid1(VALU_DEP_3)
	v_fma_f64 v[110:111], v[190:191], s[2:3], v[110:111]
	v_fma_f64 v[125:126], v[164:165], s[10:11], v[98:99]
	;; [unrolled: 1-line block ×3, first 2 shown]
	s_delay_alu instid0(VALU_DEP_3)
	v_fma_f64 v[131:132], v[90:91], s[14:15], v[110:111]
	v_add_f64 v[110:111], v[123:124], v[135:136]
	v_fma_f64 v[127:128], v[90:91], s[14:15], v[127:128]
	v_add_f64 v[90:91], v[135:136], v[168:169]
	v_add_f64 v[135:136], v[139:140], -v[135:136]
	v_fma_f64 v[125:126], v[170:171], s[2:3], v[125:126]
	v_fma_f64 v[98:99], v[170:171], s[6:7], v[98:99]
	v_add_f64 v[110:111], v[110:111], v[139:140]
	v_add_f64 v[139:140], v[141:142], -v[166:167]
	v_fma_f64 v[90:91], v[90:91], -0.5, v[123:124]
	v_fma_f64 v[125:126], v[81:82], s[14:15], v[125:126]
	v_fma_f64 v[129:130], v[81:82], s[14:15], v[98:99]
	v_add_f64 v[98:99], v[121:122], v[133:134]
	v_add_f64 v[81:82], v[133:134], v[166:167]
	;; [unrolled: 1-line block ×3, first 2 shown]
	v_add_f64 v[133:134], v[137:138], -v[133:134]
	s_delay_alu instid0(VALU_DEP_4) | instskip(NEXT) | instid1(VALU_DEP_4)
	v_add_f64 v[98:99], v[98:99], v[137:138]
	v_fma_f64 v[81:82], v[81:82], -0.5, v[121:122]
	s_delay_alu instid0(VALU_DEP_4)
	v_add_f64 v[123:124], v[110:111], v[168:169]
	v_fma_f64 v[110:111], v[190:191], s[10:11], v[90:91]
	v_fma_f64 v[90:91], v[190:191], s[12:13], v[90:91]
	v_add_f64 v[139:140], v[133:134], v[139:140]
	v_add_f64 v[190:191], v[172:173], -v[184:185]
	v_add_f64 v[98:99], v[98:99], v[141:142]
	v_fma_f64 v[137:138], v[170:171], s[12:13], v[81:82]
	v_fma_f64 v[81:82], v[170:171], s[10:11], v[81:82]
	;; [unrolled: 1-line block ×4, first 2 shown]
	v_add_f64 v[141:142], v[178:179], -v[182:183]
	v_add_f64 v[188:189], v[176:177], -v[180:181]
	v_add_f64 v[121:122], v[98:99], v[166:167]
	v_add_f64 v[98:99], v[152:153], -v[168:169]
	v_fma_f64 v[133:134], v[164:165], s[2:3], v[137:138]
	v_fma_f64 v[81:82], v[164:165], s[6:7], v[81:82]
	v_add_f64 v[152:153], v[174:175], -v[186:187]
	s_delay_alu instid0(VALU_DEP_4) | instskip(NEXT) | instid1(VALU_DEP_4)
	v_add_f64 v[98:99], v[135:136], v[98:99]
	v_fma_f64 v[133:134], v[139:140], s[14:15], v[133:134]
	s_delay_alu instid0(VALU_DEP_4) | instskip(SKIP_1) | instid1(VALU_DEP_4)
	v_fma_f64 v[137:138], v[139:140], s[14:15], v[81:82]
	v_add_f64 v[81:82], v[176:177], -v[172:173]
	v_fma_f64 v[139:140], v[98:99], s[14:15], v[90:91]
	v_add_f64 v[90:91], v[180:181], -v[184:185]
	;; [unrolled: 2-line block ×3, first 2 shown]
	v_add_f64 v[110:111], v[174:175], v[186:187]
	s_delay_alu instid0(VALU_DEP_4) | instskip(SKIP_1) | instid1(VALU_DEP_3)
	v_add_f64 v[81:82], v[81:82], v[90:91]
	v_add_f64 v[90:91], v[178:179], -v[174:175]
	v_fma_f64 v[110:111], v[110:111], -0.5, v[14:15]
	s_delay_alu instid0(VALU_DEP_2) | instskip(SKIP_1) | instid1(VALU_DEP_3)
	v_add_f64 v[90:91], v[90:91], v[98:99]
	v_add_f64 v[98:99], v[172:173], v[184:185]
	v_fma_f64 v[166:167], v[188:189], s[10:11], v[110:111]
	v_fma_f64 v[110:111], v[188:189], s[12:13], v[110:111]
	s_delay_alu instid0(VALU_DEP_3) | instskip(NEXT) | instid1(VALU_DEP_3)
	v_fma_f64 v[98:99], v[98:99], -0.5, v[12:13]
	v_fma_f64 v[166:167], v[190:191], s[6:7], v[166:167]
	s_delay_alu instid0(VALU_DEP_3) | instskip(NEXT) | instid1(VALU_DEP_3)
	v_fma_f64 v[110:111], v[190:191], s[2:3], v[110:111]
	v_fma_f64 v[164:165], v[141:142], s[12:13], v[98:99]
	;; [unrolled: 1-line block ×3, first 2 shown]
	s_delay_alu instid0(VALU_DEP_4) | instskip(NEXT) | instid1(VALU_DEP_4)
	v_fma_f64 v[166:167], v[90:91], s[14:15], v[166:167]
	v_fma_f64 v[170:171], v[90:91], s[14:15], v[110:111]
	v_add_f64 v[90:91], v[178:179], v[182:183]
	v_fma_f64 v[164:165], v[152:153], s[2:3], v[164:165]
	v_fma_f64 v[98:99], v[152:153], s[6:7], v[98:99]
	s_delay_alu instid0(VALU_DEP_3) | instskip(SKIP_1) | instid1(VALU_DEP_4)
	v_fma_f64 v[90:91], v[90:91], -0.5, v[14:15]
	v_add_f64 v[14:15], v[14:15], v[174:175]
	v_fma_f64 v[164:165], v[81:82], s[14:15], v[164:165]
	s_delay_alu instid0(VALU_DEP_4) | instskip(SKIP_3) | instid1(VALU_DEP_3)
	v_fma_f64 v[168:169], v[81:82], s[14:15], v[98:99]
	v_add_f64 v[81:82], v[176:177], v[180:181]
	v_add_f64 v[98:99], v[172:173], -v[176:177]
	v_add_f64 v[14:15], v[14:15], v[178:179]
	v_fma_f64 v[81:82], v[81:82], -0.5, v[12:13]
	v_add_f64 v[12:13], v[12:13], v[172:173]
	v_add_f64 v[172:173], v[184:185], -v[180:181]
	s_delay_alu instid0(VALU_DEP_4) | instskip(NEXT) | instid1(VALU_DEP_4)
	v_add_f64 v[14:15], v[14:15], v[182:183]
	v_fma_f64 v[110:111], v[152:153], s[10:11], v[81:82]
	s_delay_alu instid0(VALU_DEP_4)
	v_add_f64 v[12:13], v[12:13], v[176:177]
	v_fma_f64 v[81:82], v[152:153], s[12:13], v[81:82]
	v_add_f64 v[152:153], v[174:175], -v[178:179]
	v_add_f64 v[174:175], v[186:187], -v[182:183]
	v_fma_f64 v[176:177], v[190:191], s[12:13], v[90:91]
	v_fma_f64 v[90:91], v[190:191], s[10:11], v[90:91]
	v_add_f64 v[98:99], v[98:99], v[172:173]
	v_add_f64 v[14:15], v[14:15], v[186:187]
	v_fma_f64 v[110:111], v[141:142], s[2:3], v[110:111]
	v_add_f64 v[12:13], v[12:13], v[180:181]
	v_fma_f64 v[81:82], v[141:142], s[6:7], v[81:82]
	;; [unrolled: 2-line block ×3, first 2 shown]
	v_fma_f64 v[90:91], v[188:189], s[2:3], v[90:91]
	s_add_u32 s2, s4, 0x7a40
	s_addc_u32 s3, s5, 0
	s_mov_b32 s4, exec_lo
	v_fma_f64 v[172:173], v[98:99], s[14:15], v[110:111]
	v_add_f64 v[12:13], v[12:13], v[184:185]
	v_fma_f64 v[176:177], v[98:99], s[14:15], v[81:82]
	v_fma_f64 v[174:175], v[141:142], s[14:15], v[152:153]
	;; [unrolled: 1-line block ×3, first 2 shown]
	ds_store_b128 v214, v[8:11]
	ds_store_b128 v214, v[0:3] offset:6272
	ds_store_b128 v214, v[17:20] offset:12544
	ds_store_b128 v214, v[21:24] offset:18816
	ds_store_b128 v214, v[4:7] offset:25088
	ds_store_b128 v215, v[25:28]
	ds_store_b128 v215, v[33:36] offset:6272
	ds_store_b128 v215, v[41:44] offset:12544
	ds_store_b128 v215, v[45:48] offset:18816
	ds_store_b128 v215, v[37:40] offset:25088
	;; [unrolled: 5-line block ×7, first 2 shown]
	s_waitcnt lgkmcnt(0)
	s_barrier
	buffer_gl0_inv
	ds_load_b128 v[4:7], v214
	v_lshlrev_b32_e32 v0, 4, v144
                                        ; implicit-def: $vgpr8_vgpr9
                                        ; implicit-def: $vgpr2_vgpr3
	s_delay_alu instid0(VALU_DEP_1)
	v_sub_nc_u32_e32 v10, 0, v0
	v_cmpx_ne_u32_e32 0, v144
	s_xor_b32 s4, exec_lo, s4
	s_cbranch_execz .LBB0_21
; %bb.20:
	v_mov_b32_e32 v145, 0
	s_delay_alu instid0(VALU_DEP_1) | instskip(NEXT) | instid1(VALU_DEP_1)
	v_lshlrev_b64 v[0:1], 4, v[144:145]
	v_add_co_u32 v0, s1, s2, v0
	s_delay_alu instid0(VALU_DEP_1)
	v_add_co_ci_u32_e64 v1, s1, s3, v1, s1
	global_load_b128 v[11:14], v[0:1], off
	ds_load_b128 v[0:3], v10 offset:31360
	s_waitcnt lgkmcnt(0)
	v_add_f64 v[8:9], v[4:5], -v[0:1]
	v_add_f64 v[17:18], v[6:7], v[2:3]
	v_add_f64 v[2:3], v[6:7], -v[2:3]
	v_add_f64 v[0:1], v[4:5], v[0:1]
	s_delay_alu instid0(VALU_DEP_4) | instskip(NEXT) | instid1(VALU_DEP_4)
	v_mul_f64 v[6:7], v[8:9], 0.5
	v_mul_f64 v[4:5], v[17:18], 0.5
	s_delay_alu instid0(VALU_DEP_4) | instskip(SKIP_1) | instid1(VALU_DEP_3)
	v_mul_f64 v[2:3], v[2:3], 0.5
	s_waitcnt vmcnt(0)
	v_mul_f64 v[8:9], v[6:7], v[13:14]
	s_delay_alu instid0(VALU_DEP_2) | instskip(SKIP_1) | instid1(VALU_DEP_3)
	v_fma_f64 v[17:18], v[4:5], v[13:14], v[2:3]
	v_fma_f64 v[2:3], v[4:5], v[13:14], -v[2:3]
	v_fma_f64 v[19:20], v[0:1], 0.5, v[8:9]
	v_fma_f64 v[0:1], v[0:1], 0.5, -v[8:9]
	s_delay_alu instid0(VALU_DEP_4) | instskip(NEXT) | instid1(VALU_DEP_4)
	v_fma_f64 v[8:9], -v[11:12], v[6:7], v[17:18]
	v_fma_f64 v[2:3], -v[11:12], v[6:7], v[2:3]
	s_delay_alu instid0(VALU_DEP_4) | instskip(NEXT) | instid1(VALU_DEP_4)
	v_fma_f64 v[13:14], v[4:5], v[11:12], v[19:20]
	v_fma_f64 v[0:1], -v[4:5], v[11:12], v[0:1]
                                        ; implicit-def: $vgpr4_vgpr5
	ds_store_b64 v214, v[13:14]
.LBB0_21:
	s_and_not1_saveexec_b32 s1, s4
	s_cbranch_execz .LBB0_23
; %bb.22:
	s_waitcnt lgkmcnt(0)
	v_add_f64 v[11:12], v[4:5], v[6:7]
	v_add_f64 v[0:1], v[4:5], -v[6:7]
	v_mov_b32_e32 v6, 0
	v_mov_b32_e32 v8, 0
	v_mov_b32_e32 v9, 0
	s_delay_alu instid0(VALU_DEP_2)
	v_mov_b32_e32 v2, v8
	ds_load_b64 v[4:5], v6 offset:15688
	v_mov_b32_e32 v3, v9
	s_waitcnt lgkmcnt(0)
	v_xor_b32_e32 v5, 0x80000000, v5
	ds_store_b64 v214, v[11:12]
	ds_store_b64 v6, v[4:5] offset:15688
.LBB0_23:
	s_or_b32 exec_lo, exec_lo, s1
	v_mov_b32_e32 v155, 0
	s_waitcnt lgkmcnt(0)
	s_delay_alu instid0(VALU_DEP_1)
	v_lshlrev_b64 v[4:5], 4, v[154:155]
	v_mov_b32_e32 v164, v155
	v_mov_b32_e32 v113, v155
	;; [unrolled: 1-line block ×5, first 2 shown]
	v_add_co_u32 v4, s1, s2, v4
	s_delay_alu instid0(VALU_DEP_1) | instskip(SKIP_4) | instid1(VALU_DEP_1)
	v_add_co_ci_u32_e64 v5, s1, s3, v5, s1
	v_lshlrev_b64 v[11:12], 4, v[163:164]
	v_mov_b32_e32 v163, v155
	global_load_b128 v[4:7], v[4:5], off
	v_add_co_u32 v11, s1, s2, v11
	v_add_co_ci_u32_e64 v12, s1, s3, v12, s1
	global_load_b128 v[11:14], v[11:12], off
	ds_store_b64 v214, v[8:9] offset:8
	ds_store_b128 v10, v[0:3] offset:31360
	ds_load_b128 v[0:3], v215
	ds_load_b128 v[17:20], v10 offset:30464
	s_waitcnt lgkmcnt(0)
	v_add_f64 v[8:9], v[0:1], -v[17:18]
	v_add_f64 v[21:22], v[2:3], v[19:20]
	v_add_f64 v[2:3], v[2:3], -v[19:20]
	v_add_f64 v[0:1], v[0:1], v[17:18]
	s_delay_alu instid0(VALU_DEP_4) | instskip(NEXT) | instid1(VALU_DEP_4)
	v_mul_f64 v[8:9], v[8:9], 0.5
	v_mul_f64 v[19:20], v[21:22], 0.5
	s_delay_alu instid0(VALU_DEP_4) | instskip(SKIP_1) | instid1(VALU_DEP_3)
	v_mul_f64 v[2:3], v[2:3], 0.5
	s_waitcnt vmcnt(1)
	v_mul_f64 v[17:18], v[8:9], v[6:7]
	s_delay_alu instid0(VALU_DEP_2) | instskip(SKIP_1) | instid1(VALU_DEP_3)
	v_fma_f64 v[21:22], v[19:20], v[6:7], v[2:3]
	v_fma_f64 v[6:7], v[19:20], v[6:7], -v[2:3]
	v_fma_f64 v[23:24], v[0:1], 0.5, v[17:18]
	v_fma_f64 v[17:18], v[0:1], 0.5, -v[17:18]
	s_delay_alu instid0(VALU_DEP_4) | instskip(NEXT) | instid1(VALU_DEP_4)
	v_fma_f64 v[2:3], -v[4:5], v[8:9], v[21:22]
	v_fma_f64 v[6:7], -v[4:5], v[8:9], v[6:7]
	v_lshlrev_b64 v[8:9], 4, v[162:163]
	v_mov_b32_e32 v162, v155
	s_delay_alu instid0(VALU_DEP_2) | instskip(NEXT) | instid1(VALU_DEP_1)
	v_add_co_u32 v8, s1, s2, v8
	v_add_co_ci_u32_e64 v9, s1, s3, v9, s1
	v_fma_f64 v[0:1], v[19:20], v[4:5], v[23:24]
	v_fma_f64 v[4:5], -v[19:20], v[4:5], v[17:18]
	global_load_b128 v[17:20], v[8:9], off
	ds_store_b128 v215, v[0:3]
	ds_store_b128 v10, v[4:7] offset:30464
	ds_load_b128 v[0:3], v151
	ds_load_b128 v[4:7], v10 offset:29568
	s_waitcnt lgkmcnt(0)
	v_add_f64 v[8:9], v[0:1], -v[4:5]
	v_add_f64 v[21:22], v[2:3], v[6:7]
	v_add_f64 v[2:3], v[2:3], -v[6:7]
	v_add_f64 v[0:1], v[0:1], v[4:5]
	s_delay_alu instid0(VALU_DEP_4) | instskip(NEXT) | instid1(VALU_DEP_4)
	v_mul_f64 v[6:7], v[8:9], 0.5
	v_mul_f64 v[8:9], v[21:22], 0.5
	s_delay_alu instid0(VALU_DEP_4) | instskip(SKIP_1) | instid1(VALU_DEP_3)
	v_mul_f64 v[2:3], v[2:3], 0.5
	s_waitcnt vmcnt(1)
	v_mul_f64 v[4:5], v[6:7], v[13:14]
	s_delay_alu instid0(VALU_DEP_2) | instskip(SKIP_1) | instid1(VALU_DEP_3)
	v_fma_f64 v[21:22], v[8:9], v[13:14], v[2:3]
	v_fma_f64 v[13:14], v[8:9], v[13:14], -v[2:3]
	v_fma_f64 v[23:24], v[0:1], 0.5, v[4:5]
	v_fma_f64 v[4:5], v[0:1], 0.5, -v[4:5]
	s_delay_alu instid0(VALU_DEP_4) | instskip(NEXT) | instid1(VALU_DEP_4)
	v_fma_f64 v[2:3], -v[11:12], v[6:7], v[21:22]
	v_fma_f64 v[6:7], -v[11:12], v[6:7], v[13:14]
	s_delay_alu instid0(VALU_DEP_4) | instskip(NEXT) | instid1(VALU_DEP_4)
	v_fma_f64 v[0:1], v[8:9], v[11:12], v[23:24]
	v_fma_f64 v[4:5], -v[8:9], v[11:12], v[4:5]
	v_lshlrev_b64 v[8:9], 4, v[161:162]
	v_mov_b32_e32 v161, v155
	s_delay_alu instid0(VALU_DEP_2) | instskip(NEXT) | instid1(VALU_DEP_1)
	v_add_co_u32 v8, s1, s2, v8
	v_add_co_ci_u32_e64 v9, s1, s3, v9, s1
	global_load_b128 v[11:14], v[8:9], off
	ds_store_b128 v151, v[0:3]
	ds_store_b128 v10, v[4:7] offset:29568
	ds_load_b128 v[0:3], v149
	ds_load_b128 v[4:7], v10 offset:28672
	s_waitcnt lgkmcnt(0)
	v_add_f64 v[8:9], v[0:1], -v[4:5]
	v_add_f64 v[21:22], v[2:3], v[6:7]
	v_add_f64 v[2:3], v[2:3], -v[6:7]
	v_add_f64 v[0:1], v[0:1], v[4:5]
	s_delay_alu instid0(VALU_DEP_4) | instskip(NEXT) | instid1(VALU_DEP_4)
	v_mul_f64 v[6:7], v[8:9], 0.5
	v_mul_f64 v[8:9], v[21:22], 0.5
	s_delay_alu instid0(VALU_DEP_4) | instskip(SKIP_1) | instid1(VALU_DEP_3)
	v_mul_f64 v[2:3], v[2:3], 0.5
	s_waitcnt vmcnt(1)
	v_mul_f64 v[4:5], v[6:7], v[19:20]
	s_delay_alu instid0(VALU_DEP_2) | instskip(SKIP_1) | instid1(VALU_DEP_3)
	v_fma_f64 v[21:22], v[8:9], v[19:20], v[2:3]
	v_fma_f64 v[19:20], v[8:9], v[19:20], -v[2:3]
	v_fma_f64 v[23:24], v[0:1], 0.5, v[4:5]
	v_fma_f64 v[4:5], v[0:1], 0.5, -v[4:5]
	s_delay_alu instid0(VALU_DEP_4) | instskip(NEXT) | instid1(VALU_DEP_4)
	v_fma_f64 v[2:3], -v[17:18], v[6:7], v[21:22]
	v_fma_f64 v[6:7], -v[17:18], v[6:7], v[19:20]
	s_delay_alu instid0(VALU_DEP_4) | instskip(NEXT) | instid1(VALU_DEP_4)
	v_fma_f64 v[0:1], v[8:9], v[17:18], v[23:24]
	v_fma_f64 v[4:5], -v[8:9], v[17:18], v[4:5]
	v_lshlrev_b64 v[8:9], 4, v[160:161]
	v_mov_b32_e32 v160, v155
	s_delay_alu instid0(VALU_DEP_2) | instskip(NEXT) | instid1(VALU_DEP_1)
	v_add_co_u32 v8, s1, s2, v8
	v_add_co_ci_u32_e64 v9, s1, s3, v9, s1
	;; [unrolled: 33-line block ×5, first 2 shown]
	global_load_b128 v[11:14], v[8:9], off
	ds_store_b128 v218, v[0:3]
	ds_store_b128 v10, v[4:7] offset:25984
	ds_load_b128 v[0:3], v192
	ds_load_b128 v[4:7], v10 offset:25088
	s_waitcnt lgkmcnt(0)
	v_add_f64 v[8:9], v[0:1], -v[4:5]
	v_add_f64 v[21:22], v[2:3], v[6:7]
	v_add_f64 v[2:3], v[2:3], -v[6:7]
	v_add_f64 v[0:1], v[0:1], v[4:5]
	s_delay_alu instid0(VALU_DEP_4) | instskip(NEXT) | instid1(VALU_DEP_4)
	v_mul_f64 v[6:7], v[8:9], 0.5
	v_mul_f64 v[8:9], v[21:22], 0.5
	s_delay_alu instid0(VALU_DEP_4) | instskip(SKIP_1) | instid1(VALU_DEP_3)
	v_mul_f64 v[2:3], v[2:3], 0.5
	s_waitcnt vmcnt(1)
	v_mul_f64 v[4:5], v[6:7], v[19:20]
	s_delay_alu instid0(VALU_DEP_2) | instskip(SKIP_1) | instid1(VALU_DEP_3)
	v_fma_f64 v[21:22], v[8:9], v[19:20], v[2:3]
	v_fma_f64 v[19:20], v[8:9], v[19:20], -v[2:3]
	v_fma_f64 v[23:24], v[0:1], 0.5, v[4:5]
	v_fma_f64 v[4:5], v[0:1], 0.5, -v[4:5]
	s_delay_alu instid0(VALU_DEP_4) | instskip(NEXT) | instid1(VALU_DEP_4)
	v_fma_f64 v[2:3], -v[17:18], v[6:7], v[21:22]
	v_fma_f64 v[6:7], -v[17:18], v[6:7], v[19:20]
	s_delay_alu instid0(VALU_DEP_4) | instskip(NEXT) | instid1(VALU_DEP_4)
	v_fma_f64 v[0:1], v[8:9], v[17:18], v[23:24]
	v_fma_f64 v[4:5], -v[8:9], v[17:18], v[4:5]
	v_lshlrev_b64 v[8:9], 4, v[112:113]
	s_delay_alu instid0(VALU_DEP_1) | instskip(NEXT) | instid1(VALU_DEP_1)
	v_add_co_u32 v8, s1, s2, v8
	v_add_co_ci_u32_e64 v9, s1, s3, v9, s1
	global_load_b128 v[17:20], v[8:9], off
	ds_store_b128 v192, v[0:3]
	ds_store_b128 v10, v[4:7] offset:25088
	ds_load_b128 v[0:3], v255
	ds_load_b128 v[4:7], v10 offset:24192
	s_waitcnt lgkmcnt(0)
	v_add_f64 v[8:9], v[0:1], -v[4:5]
	v_add_f64 v[21:22], v[2:3], v[6:7]
	v_add_f64 v[2:3], v[2:3], -v[6:7]
	v_add_f64 v[0:1], v[0:1], v[4:5]
	s_delay_alu instid0(VALU_DEP_4) | instskip(NEXT) | instid1(VALU_DEP_4)
	v_mul_f64 v[6:7], v[8:9], 0.5
	v_mul_f64 v[8:9], v[21:22], 0.5
	s_delay_alu instid0(VALU_DEP_4) | instskip(SKIP_1) | instid1(VALU_DEP_3)
	v_mul_f64 v[2:3], v[2:3], 0.5
	s_waitcnt vmcnt(1)
	v_mul_f64 v[4:5], v[6:7], v[13:14]
	s_delay_alu instid0(VALU_DEP_2) | instskip(SKIP_1) | instid1(VALU_DEP_3)
	v_fma_f64 v[21:22], v[8:9], v[13:14], v[2:3]
	v_fma_f64 v[13:14], v[8:9], v[13:14], -v[2:3]
	v_fma_f64 v[23:24], v[0:1], 0.5, v[4:5]
	v_fma_f64 v[4:5], v[0:1], 0.5, -v[4:5]
	s_delay_alu instid0(VALU_DEP_4) | instskip(NEXT) | instid1(VALU_DEP_4)
	v_fma_f64 v[2:3], -v[11:12], v[6:7], v[21:22]
	v_fma_f64 v[6:7], -v[11:12], v[6:7], v[13:14]
	s_delay_alu instid0(VALU_DEP_4) | instskip(NEXT) | instid1(VALU_DEP_4)
	v_fma_f64 v[0:1], v[8:9], v[11:12], v[23:24]
	v_fma_f64 v[4:5], -v[8:9], v[11:12], v[4:5]
	v_lshlrev_b64 v[8:9], 4, v[101:102]
	v_mov_b32_e32 v101, v155
	s_delay_alu instid0(VALU_DEP_2) | instskip(NEXT) | instid1(VALU_DEP_1)
	v_add_co_u32 v8, s1, s2, v8
	v_add_co_ci_u32_e64 v9, s1, s3, v9, s1
	global_load_b128 v[11:14], v[8:9], off
	ds_store_b128 v255, v[0:3]
	ds_store_b128 v10, v[4:7] offset:24192
	ds_load_b128 v[0:3], v214 offset:8064
	ds_load_b128 v[4:7], v10 offset:23296
	s_waitcnt lgkmcnt(0)
	v_add_f64 v[8:9], v[0:1], -v[4:5]
	v_add_f64 v[21:22], v[2:3], v[6:7]
	v_add_f64 v[2:3], v[2:3], -v[6:7]
	v_add_f64 v[0:1], v[0:1], v[4:5]
	s_delay_alu instid0(VALU_DEP_4) | instskip(NEXT) | instid1(VALU_DEP_4)
	v_mul_f64 v[6:7], v[8:9], 0.5
	v_mul_f64 v[8:9], v[21:22], 0.5
	s_delay_alu instid0(VALU_DEP_4) | instskip(SKIP_1) | instid1(VALU_DEP_3)
	v_mul_f64 v[2:3], v[2:3], 0.5
	s_waitcnt vmcnt(1)
	v_mul_f64 v[4:5], v[6:7], v[19:20]
	s_delay_alu instid0(VALU_DEP_2) | instskip(SKIP_1) | instid1(VALU_DEP_3)
	v_fma_f64 v[21:22], v[8:9], v[19:20], v[2:3]
	v_fma_f64 v[19:20], v[8:9], v[19:20], -v[2:3]
	v_fma_f64 v[23:24], v[0:1], 0.5, v[4:5]
	v_fma_f64 v[4:5], v[0:1], 0.5, -v[4:5]
	s_delay_alu instid0(VALU_DEP_4) | instskip(NEXT) | instid1(VALU_DEP_4)
	v_fma_f64 v[2:3], -v[17:18], v[6:7], v[21:22]
	v_fma_f64 v[6:7], -v[17:18], v[6:7], v[19:20]
	s_delay_alu instid0(VALU_DEP_4) | instskip(NEXT) | instid1(VALU_DEP_4)
	v_fma_f64 v[0:1], v[8:9], v[17:18], v[23:24]
	v_fma_f64 v[4:5], -v[8:9], v[17:18], v[4:5]
	v_lshlrev_b64 v[8:9], 4, v[100:101]
	s_delay_alu instid0(VALU_DEP_1) | instskip(NEXT) | instid1(VALU_DEP_1)
	v_add_co_u32 v8, s1, s2, v8
	v_add_co_ci_u32_e64 v9, s1, s3, v9, s1
	global_load_b128 v[17:20], v[8:9], off
	ds_store_b128 v214, v[0:3] offset:8064
	ds_store_b128 v10, v[4:7] offset:23296
	ds_load_b128 v[0:3], v214 offset:8960
	ds_load_b128 v[4:7], v10 offset:22400
	s_waitcnt lgkmcnt(0)
	v_add_f64 v[8:9], v[0:1], -v[4:5]
	v_add_f64 v[21:22], v[2:3], v[6:7]
	v_add_f64 v[2:3], v[2:3], -v[6:7]
	v_add_f64 v[0:1], v[0:1], v[4:5]
	s_delay_alu instid0(VALU_DEP_4) | instskip(NEXT) | instid1(VALU_DEP_4)
	v_mul_f64 v[6:7], v[8:9], 0.5
	v_mul_f64 v[8:9], v[21:22], 0.5
	s_delay_alu instid0(VALU_DEP_4) | instskip(SKIP_1) | instid1(VALU_DEP_3)
	v_mul_f64 v[2:3], v[2:3], 0.5
	s_waitcnt vmcnt(1)
	v_mul_f64 v[4:5], v[6:7], v[13:14]
	s_delay_alu instid0(VALU_DEP_2) | instskip(SKIP_1) | instid1(VALU_DEP_3)
	v_fma_f64 v[21:22], v[8:9], v[13:14], v[2:3]
	v_fma_f64 v[13:14], v[8:9], v[13:14], -v[2:3]
	v_fma_f64 v[23:24], v[0:1], 0.5, v[4:5]
	v_fma_f64 v[4:5], v[0:1], 0.5, -v[4:5]
	s_delay_alu instid0(VALU_DEP_4) | instskip(NEXT) | instid1(VALU_DEP_4)
	v_fma_f64 v[2:3], -v[11:12], v[6:7], v[21:22]
	v_fma_f64 v[6:7], -v[11:12], v[6:7], v[13:14]
	s_delay_alu instid0(VALU_DEP_4) | instskip(NEXT) | instid1(VALU_DEP_4)
	v_fma_f64 v[0:1], v[8:9], v[11:12], v[23:24]
	v_fma_f64 v[4:5], -v[8:9], v[11:12], v[4:5]
	v_lshlrev_b64 v[8:9], 4, v[93:94]
	v_mov_b32_e32 v93, v155
	s_delay_alu instid0(VALU_DEP_2) | instskip(NEXT) | instid1(VALU_DEP_1)
	v_add_co_u32 v8, s1, s2, v8
	v_add_co_ci_u32_e64 v9, s1, s3, v9, s1
	global_load_b128 v[11:14], v[8:9], off
	ds_store_b128 v214, v[0:3] offset:8960
	ds_store_b128 v10, v[4:7] offset:22400
	ds_load_b128 v[0:3], v214 offset:9856
	ds_load_b128 v[4:7], v10 offset:21504
	s_waitcnt lgkmcnt(0)
	v_add_f64 v[8:9], v[0:1], -v[4:5]
	v_add_f64 v[21:22], v[2:3], v[6:7]
	v_add_f64 v[2:3], v[2:3], -v[6:7]
	v_add_f64 v[0:1], v[0:1], v[4:5]
	s_delay_alu instid0(VALU_DEP_4) | instskip(NEXT) | instid1(VALU_DEP_4)
	v_mul_f64 v[6:7], v[8:9], 0.5
	v_mul_f64 v[8:9], v[21:22], 0.5
	s_delay_alu instid0(VALU_DEP_4) | instskip(SKIP_1) | instid1(VALU_DEP_3)
	v_mul_f64 v[2:3], v[2:3], 0.5
	s_waitcnt vmcnt(1)
	v_mul_f64 v[4:5], v[6:7], v[19:20]
	s_delay_alu instid0(VALU_DEP_2) | instskip(SKIP_1) | instid1(VALU_DEP_3)
	v_fma_f64 v[21:22], v[8:9], v[19:20], v[2:3]
	v_fma_f64 v[19:20], v[8:9], v[19:20], -v[2:3]
	v_fma_f64 v[23:24], v[0:1], 0.5, v[4:5]
	v_fma_f64 v[4:5], v[0:1], 0.5, -v[4:5]
	s_delay_alu instid0(VALU_DEP_4) | instskip(NEXT) | instid1(VALU_DEP_4)
	v_fma_f64 v[2:3], -v[17:18], v[6:7], v[21:22]
	v_fma_f64 v[6:7], -v[17:18], v[6:7], v[19:20]
	s_delay_alu instid0(VALU_DEP_4) | instskip(NEXT) | instid1(VALU_DEP_4)
	v_fma_f64 v[0:1], v[8:9], v[17:18], v[23:24]
	v_fma_f64 v[4:5], -v[8:9], v[17:18], v[4:5]
	v_lshlrev_b64 v[8:9], 4, v[92:93]
	s_delay_alu instid0(VALU_DEP_1) | instskip(NEXT) | instid1(VALU_DEP_1)
	v_add_co_u32 v8, s1, s2, v8
	v_add_co_ci_u32_e64 v9, s1, s3, v9, s1
	global_load_b128 v[17:20], v[8:9], off
	ds_store_b128 v214, v[0:3] offset:9856
	ds_store_b128 v10, v[4:7] offset:21504
	ds_load_b128 v[0:3], v214 offset:10752
	ds_load_b128 v[4:7], v10 offset:20608
	s_waitcnt lgkmcnt(0)
	v_add_f64 v[8:9], v[0:1], -v[4:5]
	v_add_f64 v[21:22], v[2:3], v[6:7]
	v_add_f64 v[2:3], v[2:3], -v[6:7]
	v_add_f64 v[0:1], v[0:1], v[4:5]
	s_delay_alu instid0(VALU_DEP_4) | instskip(NEXT) | instid1(VALU_DEP_4)
	v_mul_f64 v[6:7], v[8:9], 0.5
	v_mul_f64 v[8:9], v[21:22], 0.5
	s_delay_alu instid0(VALU_DEP_4) | instskip(SKIP_1) | instid1(VALU_DEP_3)
	v_mul_f64 v[2:3], v[2:3], 0.5
	s_waitcnt vmcnt(1)
	v_mul_f64 v[4:5], v[6:7], v[13:14]
	s_delay_alu instid0(VALU_DEP_2) | instskip(SKIP_1) | instid1(VALU_DEP_3)
	v_fma_f64 v[21:22], v[8:9], v[13:14], v[2:3]
	v_fma_f64 v[13:14], v[8:9], v[13:14], -v[2:3]
	v_fma_f64 v[23:24], v[0:1], 0.5, v[4:5]
	v_fma_f64 v[4:5], v[0:1], 0.5, -v[4:5]
	s_delay_alu instid0(VALU_DEP_4) | instskip(NEXT) | instid1(VALU_DEP_4)
	v_fma_f64 v[2:3], -v[11:12], v[6:7], v[21:22]
	v_fma_f64 v[6:7], -v[11:12], v[6:7], v[13:14]
	s_delay_alu instid0(VALU_DEP_4) | instskip(NEXT) | instid1(VALU_DEP_4)
	v_fma_f64 v[0:1], v[8:9], v[11:12], v[23:24]
	v_fma_f64 v[4:5], -v[8:9], v[11:12], v[4:5]
	v_lshlrev_b64 v[8:9], 4, v[85:86]
	v_mov_b32_e32 v85, v155
	s_delay_alu instid0(VALU_DEP_2) | instskip(NEXT) | instid1(VALU_DEP_1)
	v_add_co_u32 v8, s1, s2, v8
	v_add_co_ci_u32_e64 v9, s1, s3, v9, s1
	global_load_b128 v[11:14], v[8:9], off
	ds_store_b128 v214, v[0:3] offset:10752
	ds_store_b128 v10, v[4:7] offset:20608
	ds_load_b128 v[0:3], v214 offset:11648
	ds_load_b128 v[4:7], v10 offset:19712
	s_waitcnt lgkmcnt(0)
	v_add_f64 v[8:9], v[0:1], -v[4:5]
	v_add_f64 v[21:22], v[2:3], v[6:7]
	v_add_f64 v[2:3], v[2:3], -v[6:7]
	v_add_f64 v[0:1], v[0:1], v[4:5]
	s_delay_alu instid0(VALU_DEP_4) | instskip(NEXT) | instid1(VALU_DEP_4)
	v_mul_f64 v[6:7], v[8:9], 0.5
	v_mul_f64 v[8:9], v[21:22], 0.5
	s_delay_alu instid0(VALU_DEP_4) | instskip(SKIP_1) | instid1(VALU_DEP_3)
	v_mul_f64 v[2:3], v[2:3], 0.5
	s_waitcnt vmcnt(1)
	v_mul_f64 v[4:5], v[6:7], v[19:20]
	s_delay_alu instid0(VALU_DEP_2) | instskip(SKIP_1) | instid1(VALU_DEP_3)
	v_fma_f64 v[21:22], v[8:9], v[19:20], v[2:3]
	v_fma_f64 v[19:20], v[8:9], v[19:20], -v[2:3]
	v_fma_f64 v[23:24], v[0:1], 0.5, v[4:5]
	v_fma_f64 v[4:5], v[0:1], 0.5, -v[4:5]
	s_delay_alu instid0(VALU_DEP_4) | instskip(NEXT) | instid1(VALU_DEP_4)
	v_fma_f64 v[2:3], -v[17:18], v[6:7], v[21:22]
	v_fma_f64 v[6:7], -v[17:18], v[6:7], v[19:20]
	s_delay_alu instid0(VALU_DEP_4) | instskip(NEXT) | instid1(VALU_DEP_4)
	v_fma_f64 v[0:1], v[8:9], v[17:18], v[23:24]
	v_fma_f64 v[4:5], -v[8:9], v[17:18], v[4:5]
	v_lshlrev_b64 v[8:9], 4, v[84:85]
	s_delay_alu instid0(VALU_DEP_1) | instskip(NEXT) | instid1(VALU_DEP_1)
	v_add_co_u32 v8, s1, s2, v8
	v_add_co_ci_u32_e64 v9, s1, s3, v9, s1
	global_load_b128 v[17:20], v[8:9], off
	ds_store_b128 v214, v[0:3] offset:11648
	ds_store_b128 v10, v[4:7] offset:19712
	ds_load_b128 v[0:3], v214 offset:12544
	ds_load_b128 v[4:7], v10 offset:18816
	s_waitcnt lgkmcnt(0)
	v_add_f64 v[8:9], v[0:1], -v[4:5]
	v_add_f64 v[21:22], v[2:3], v[6:7]
	v_add_f64 v[2:3], v[2:3], -v[6:7]
	v_add_f64 v[0:1], v[0:1], v[4:5]
	s_delay_alu instid0(VALU_DEP_4) | instskip(NEXT) | instid1(VALU_DEP_4)
	v_mul_f64 v[6:7], v[8:9], 0.5
	v_mul_f64 v[21:22], v[21:22], 0.5
	s_delay_alu instid0(VALU_DEP_4) | instskip(SKIP_1) | instid1(VALU_DEP_3)
	v_mul_f64 v[2:3], v[2:3], 0.5
	s_waitcnt vmcnt(1)
	v_mul_f64 v[4:5], v[6:7], v[13:14]
	s_delay_alu instid0(VALU_DEP_2) | instskip(SKIP_1) | instid1(VALU_DEP_3)
	v_fma_f64 v[8:9], v[21:22], v[13:14], v[2:3]
	v_fma_f64 v[2:3], v[21:22], v[13:14], -v[2:3]
	v_fma_f64 v[13:14], v[0:1], 0.5, v[4:5]
	v_fma_f64 v[0:1], v[0:1], 0.5, -v[4:5]
	s_delay_alu instid0(VALU_DEP_4) | instskip(NEXT) | instid1(VALU_DEP_4)
	v_fma_f64 v[4:5], -v[11:12], v[6:7], v[8:9]
	v_fma_f64 v[8:9], -v[11:12], v[6:7], v[2:3]
	s_delay_alu instid0(VALU_DEP_4) | instskip(NEXT) | instid1(VALU_DEP_4)
	v_fma_f64 v[2:3], v[21:22], v[11:12], v[13:14]
	v_fma_f64 v[6:7], -v[21:22], v[11:12], v[0:1]
	v_lshlrev_b64 v[0:1], 4, v[156:157]
	s_delay_alu instid0(VALU_DEP_1) | instskip(NEXT) | instid1(VALU_DEP_1)
	v_add_co_u32 v11, s1, s2, v0
	v_add_co_ci_u32_e64 v12, s1, s3, v1, s1
	global_load_b128 v[11:14], v[11:12], off
	ds_store_b128 v214, v[2:5] offset:12544
	ds_store_b128 v10, v[6:9] offset:18816
	ds_load_b128 v[2:5], v214 offset:13440
	ds_load_b128 v[6:9], v10 offset:17920
	s_waitcnt lgkmcnt(0)
	v_add_f64 v[21:22], v[2:3], -v[6:7]
	v_add_f64 v[23:24], v[4:5], v[8:9]
	v_add_f64 v[4:5], v[4:5], -v[8:9]
	v_add_f64 v[2:3], v[2:3], v[6:7]
	s_delay_alu instid0(VALU_DEP_4) | instskip(NEXT) | instid1(VALU_DEP_4)
	v_mul_f64 v[8:9], v[21:22], 0.5
	v_mul_f64 v[21:22], v[23:24], 0.5
	s_delay_alu instid0(VALU_DEP_4) | instskip(SKIP_1) | instid1(VALU_DEP_3)
	v_mul_f64 v[4:5], v[4:5], 0.5
	s_waitcnt vmcnt(1)
	v_mul_f64 v[6:7], v[8:9], v[19:20]
	s_delay_alu instid0(VALU_DEP_2) | instskip(SKIP_1) | instid1(VALU_DEP_3)
	v_fma_f64 v[23:24], v[21:22], v[19:20], v[4:5]
	v_fma_f64 v[19:20], v[21:22], v[19:20], -v[4:5]
	v_fma_f64 v[25:26], v[2:3], 0.5, v[6:7]
	v_fma_f64 v[6:7], v[2:3], 0.5, -v[6:7]
	s_delay_alu instid0(VALU_DEP_4) | instskip(NEXT) | instid1(VALU_DEP_4)
	v_fma_f64 v[4:5], -v[17:18], v[8:9], v[23:24]
	v_fma_f64 v[8:9], -v[17:18], v[8:9], v[19:20]
	s_delay_alu instid0(VALU_DEP_4) | instskip(NEXT) | instid1(VALU_DEP_4)
	v_fma_f64 v[2:3], v[21:22], v[17:18], v[25:26]
	v_fma_f64 v[6:7], -v[21:22], v[17:18], v[6:7]
	ds_store_b128 v214, v[2:5] offset:13440
	ds_store_b128 v10, v[6:9] offset:17920
	ds_load_b128 v[2:5], v214 offset:14336
	ds_load_b128 v[6:9], v10 offset:17024
	s_waitcnt lgkmcnt(0)
	v_add_f64 v[17:18], v[2:3], -v[6:7]
	v_add_f64 v[19:20], v[4:5], v[8:9]
	v_add_f64 v[4:5], v[4:5], -v[8:9]
	v_add_f64 v[2:3], v[2:3], v[6:7]
	s_delay_alu instid0(VALU_DEP_4) | instskip(NEXT) | instid1(VALU_DEP_4)
	v_mul_f64 v[8:9], v[17:18], 0.5
	v_mul_f64 v[17:18], v[19:20], 0.5
	s_delay_alu instid0(VALU_DEP_4) | instskip(SKIP_1) | instid1(VALU_DEP_3)
	v_mul_f64 v[4:5], v[4:5], 0.5
	s_waitcnt vmcnt(0)
	v_mul_f64 v[6:7], v[8:9], v[13:14]
	s_delay_alu instid0(VALU_DEP_2) | instskip(SKIP_1) | instid1(VALU_DEP_3)
	v_fma_f64 v[19:20], v[17:18], v[13:14], v[4:5]
	v_fma_f64 v[13:14], v[17:18], v[13:14], -v[4:5]
	v_fma_f64 v[21:22], v[2:3], 0.5, v[6:7]
	v_fma_f64 v[6:7], v[2:3], 0.5, -v[6:7]
	s_delay_alu instid0(VALU_DEP_4) | instskip(NEXT) | instid1(VALU_DEP_4)
	v_fma_f64 v[4:5], -v[11:12], v[8:9], v[19:20]
	v_fma_f64 v[8:9], -v[11:12], v[8:9], v[13:14]
	s_delay_alu instid0(VALU_DEP_4) | instskip(NEXT) | instid1(VALU_DEP_4)
	v_fma_f64 v[2:3], v[17:18], v[11:12], v[21:22]
	v_fma_f64 v[6:7], -v[17:18], v[11:12], v[6:7]
	ds_store_b128 v214, v[2:5] offset:14336
	ds_store_b128 v10, v[6:9] offset:17024
	s_and_saveexec_b32 s1, s0
	s_cbranch_execz .LBB0_25
; %bb.24:
	v_mov_b32_e32 v17, v155
	s_delay_alu instid0(VALU_DEP_1) | instskip(NEXT) | instid1(VALU_DEP_1)
	v_lshlrev_b64 v[2:3], 4, v[16:17]
	v_add_co_u32 v2, s0, s2, v2
	s_delay_alu instid0(VALU_DEP_1)
	v_add_co_ci_u32_e64 v3, s0, s3, v3, s0
	global_load_b128 v[2:5], v[2:3], off
	ds_load_b128 v[6:9], v214 offset:15232
	ds_load_b128 v[11:14], v10 offset:16128
	s_waitcnt lgkmcnt(0)
	v_add_f64 v[15:16], v[6:7], -v[11:12]
	v_add_f64 v[17:18], v[8:9], v[13:14]
	v_add_f64 v[8:9], v[8:9], -v[13:14]
	v_add_f64 v[6:7], v[6:7], v[11:12]
	s_delay_alu instid0(VALU_DEP_4) | instskip(NEXT) | instid1(VALU_DEP_4)
	v_mul_f64 v[13:14], v[15:16], 0.5
	v_mul_f64 v[15:16], v[17:18], 0.5
	s_delay_alu instid0(VALU_DEP_4) | instskip(SKIP_1) | instid1(VALU_DEP_3)
	v_mul_f64 v[8:9], v[8:9], 0.5
	s_waitcnt vmcnt(0)
	v_mul_f64 v[11:12], v[13:14], v[4:5]
	s_delay_alu instid0(VALU_DEP_2) | instskip(SKIP_1) | instid1(VALU_DEP_3)
	v_fma_f64 v[17:18], v[15:16], v[4:5], v[8:9]
	v_fma_f64 v[4:5], v[15:16], v[4:5], -v[8:9]
	v_fma_f64 v[8:9], v[6:7], 0.5, v[11:12]
	v_fma_f64 v[11:12], v[6:7], 0.5, -v[11:12]
	s_delay_alu instid0(VALU_DEP_4) | instskip(NEXT) | instid1(VALU_DEP_4)
	v_fma_f64 v[6:7], -v[2:3], v[13:14], v[17:18]
	v_fma_f64 v[13:14], -v[2:3], v[13:14], v[4:5]
	s_delay_alu instid0(VALU_DEP_4) | instskip(NEXT) | instid1(VALU_DEP_4)
	v_fma_f64 v[4:5], v[15:16], v[2:3], v[8:9]
	v_fma_f64 v[11:12], -v[15:16], v[2:3], v[11:12]
	ds_store_b128 v214, v[4:7] offset:15232
	ds_store_b128 v10, v[11:14] offset:16128
.LBB0_25:
	s_or_b32 exec_lo, exec_lo, s1
	s_waitcnt lgkmcnt(0)
	s_barrier
	buffer_gl0_inv
	s_and_saveexec_b32 s0, vcc_lo
	s_cbranch_execz .LBB0_28
; %bb.26:
	ds_load_b128 v[4:7], v214
	ds_load_b128 v[8:11], v214 offset:896
	scratch_load_b64 v[2:3], off, off       ; 8-byte Folded Reload
	v_mov_b32_e32 v145, 0
	s_delay_alu instid0(VALU_DEP_1) | instskip(SKIP_3) | instid1(VALU_DEP_3)
	v_lshlrev_b64 v[12:13], 4, v[144:145]
	v_mov_b32_e32 v151, v145
	v_mov_b32_e32 v149, v145
	;; [unrolled: 1-line block ×3, first 2 shown]
	v_lshlrev_b64 v[56:57], 4, v[150:151]
	s_waitcnt vmcnt(0)
	v_add_co_u32 v2, vcc_lo, s8, v2
	v_add_co_ci_u32_e32 v3, vcc_lo, s9, v3, vcc_lo
	s_delay_alu instid0(VALU_DEP_2) | instskip(NEXT) | instid1(VALU_DEP_2)
	v_add_co_u32 v52, vcc_lo, v2, v12
	v_add_co_ci_u32_e32 v53, vcc_lo, v3, v13, vcc_lo
	ds_load_b128 v[12:15], v214 offset:1792
	ds_load_b128 v[16:19], v214 offset:2688
	;; [unrolled: 1-line block ×4, first 2 shown]
	v_add_co_u32 v54, vcc_lo, 0x1000, v52
	s_waitcnt lgkmcnt(5)
	global_store_b128 v[52:53], v[4:7], off
	s_waitcnt lgkmcnt(4)
	global_store_b128 v[52:53], v[8:11], off offset:896
	ds_load_b128 v[4:7], v214 offset:5376
	ds_load_b128 v[8:11], v214 offset:6272
	;; [unrolled: 1-line block ×8, first 2 shown]
	v_add_co_ci_u32_e32 v55, vcc_lo, 0, v53, vcc_lo
	s_waitcnt lgkmcnt(11)
	global_store_b128 v[52:53], v[12:15], off offset:1792
	s_waitcnt lgkmcnt(10)
	global_store_b128 v[52:53], v[16:19], off offset:2688
	;; [unrolled: 2-line block ×4, first 2 shown]
	v_add_co_u32 v12, vcc_lo, v2, v56
	v_add_co_ci_u32_e32 v13, vcc_lo, v3, v57, vcc_lo
	v_add_co_u32 v14, vcc_lo, 0x2000, v52
	v_add_co_ci_u32_e32 v15, vcc_lo, 0, v53, vcc_lo
	s_waitcnt lgkmcnt(7)
	global_store_b128 v[54:55], v[4:7], off offset:1280
	s_waitcnt lgkmcnt(6)
	global_store_b128 v[54:55], v[8:11], off offset:2176
	s_waitcnt lgkmcnt(5)
	global_store_b128 v[12:13], v[28:31], off
	s_waitcnt lgkmcnt(4)
	global_store_b128 v[54:55], v[32:35], off offset:3968
	s_waitcnt lgkmcnt(3)
	global_store_b128 v[14:15], v[36:39], off offset:768
	;; [unrolled: 2-line block ×5, first 2 shown]
	ds_load_b128 v[4:7], v214 offset:12544
	ds_load_b128 v[8:11], v214 offset:13440
	;; [unrolled: 1-line block ×10, first 2 shown]
	v_add_co_u32 v44, vcc_lo, 0x3000, v52
	v_add_co_ci_u32_e32 v45, vcc_lo, 0, v53, vcc_lo
	v_add_co_u32 v0, vcc_lo, v2, v0
	v_add_co_ci_u32_e32 v1, vcc_lo, v3, v1, vcc_lo
	;; [unrolled: 2-line block ×3, first 2 shown]
	s_waitcnt lgkmcnt(9)
	global_store_b128 v[44:45], v[4:7], off offset:256
	s_waitcnt lgkmcnt(8)
	global_store_b128 v[44:45], v[8:11], off offset:1152
	;; [unrolled: 2-line block ×3, first 2 shown]
	s_waitcnt lgkmcnt(5)
	s_clause 0x1
	global_store_b128 v[44:45], v[20:23], off offset:3840
	global_store_b128 v[0:1], v[12:15], off
	s_waitcnt lgkmcnt(4)
	global_store_b128 v[46:47], v[24:27], off offset:640
	s_waitcnt lgkmcnt(3)
	global_store_b128 v[46:47], v[28:31], off offset:1536
	s_waitcnt lgkmcnt(2)
	global_store_b128 v[46:47], v[32:35], off offset:2432
	v_add_co_u32 v0, vcc_lo, 0x5000, v52
	ds_load_b128 v[4:7], v214 offset:21504
	ds_load_b128 v[8:11], v214 offset:22400
	;; [unrolled: 1-line block ×3, first 2 shown]
	v_add_co_ci_u32_e32 v1, vcc_lo, 0, v53, vcc_lo
	s_waitcnt lgkmcnt(4)
	global_store_b128 v[46:47], v[36:39], off offset:3328
	s_waitcnt lgkmcnt(3)
	global_store_b128 v[0:1], v[40:43], off offset:128
	ds_load_b128 v[16:19], v214 offset:24192
	ds_load_b128 v[20:23], v214 offset:25088
	ds_load_b128 v[24:27], v214 offset:25984
	v_lshlrev_b64 v[28:29], 4, v[148:149]
	s_delay_alu instid0(VALU_DEP_1) | instskip(NEXT) | instid1(VALU_DEP_2)
	v_add_co_u32 v48, vcc_lo, v2, v28
	v_add_co_ci_u32_e32 v49, vcc_lo, v3, v29, vcc_lo
	ds_load_b128 v[28:31], v214 offset:26880
	ds_load_b128 v[32:35], v214 offset:27776
	;; [unrolled: 1-line block ×5, first 2 shown]
	s_waitcnt lgkmcnt(9)
	global_store_b128 v[0:1], v[8:11], off offset:1920
	s_waitcnt lgkmcnt(8)
	global_store_b128 v[0:1], v[12:15], off offset:2816
	v_lshlrev_b64 v[8:9], 4, v[146:147]
	v_add_co_u32 v50, vcc_lo, 0x6000, v52
	v_add_co_ci_u32_e32 v51, vcc_lo, 0, v53, vcc_lo
	global_store_b128 v[48:49], v[4:7], off
	s_waitcnt lgkmcnt(7)
	global_store_b128 v[0:1], v[16:19], off offset:3712
	s_waitcnt lgkmcnt(6)
	global_store_b128 v[50:51], v[20:23], off offset:512
	s_waitcnt lgkmcnt(5)
	global_store_b128 v[50:51], v[24:27], off offset:1408
	v_add_co_u32 v0, vcc_lo, v2, v8
	v_add_co_ci_u32_e32 v1, vcc_lo, v3, v9, vcc_lo
	v_add_co_u32 v4, vcc_lo, 0x7000, v52
	v_add_co_ci_u32_e32 v5, vcc_lo, 0, v53, vcc_lo
	v_cmp_eq_u32_e32 vcc_lo, 55, v144
	s_waitcnt lgkmcnt(4)
	global_store_b128 v[50:51], v[28:31], off offset:2304
	s_waitcnt lgkmcnt(3)
	global_store_b128 v[50:51], v[32:35], off offset:3200
	s_waitcnt lgkmcnt(2)
	global_store_b128 v[0:1], v[36:39], off
	s_waitcnt lgkmcnt(1)
	global_store_b128 v[4:5], v[40:43], off offset:896
	s_waitcnt lgkmcnt(0)
	global_store_b128 v[4:5], v[44:47], off offset:1792
	s_and_b32 exec_lo, exec_lo, vcc_lo
	s_cbranch_execz .LBB0_28
; %bb.27:
	ds_load_b128 v[4:7], v145 offset:31360
	v_add_co_u32 v0, vcc_lo, 0x7000, v2
	v_add_co_ci_u32_e32 v1, vcc_lo, 0, v3, vcc_lo
	s_waitcnt lgkmcnt(0)
	global_store_b128 v[0:1], v[4:7], off offset:2688
.LBB0_28:
	s_nop 0
	s_sendmsg sendmsg(MSG_DEALLOC_VGPRS)
	s_endpgm
	.section	.rodata,"a",@progbits
	.p2align	6, 0x0
	.amdhsa_kernel fft_rtc_back_len1960_factors_4_7_2_7_5_wgs_56_tpt_56_halfLds_dp_ip_CI_unitstride_sbrr_R2C_dirReg
		.amdhsa_group_segment_fixed_size 0
		.amdhsa_private_segment_fixed_size 12
		.amdhsa_kernarg_size 88
		.amdhsa_user_sgpr_count 15
		.amdhsa_user_sgpr_dispatch_ptr 0
		.amdhsa_user_sgpr_queue_ptr 0
		.amdhsa_user_sgpr_kernarg_segment_ptr 1
		.amdhsa_user_sgpr_dispatch_id 0
		.amdhsa_user_sgpr_private_segment_size 0
		.amdhsa_wavefront_size32 1
		.amdhsa_uses_dynamic_stack 0
		.amdhsa_enable_private_segment 1
		.amdhsa_system_sgpr_workgroup_id_x 1
		.amdhsa_system_sgpr_workgroup_id_y 0
		.amdhsa_system_sgpr_workgroup_id_z 0
		.amdhsa_system_sgpr_workgroup_info 0
		.amdhsa_system_vgpr_workitem_id 0
		.amdhsa_next_free_vgpr 256
		.amdhsa_next_free_sgpr 26
		.amdhsa_reserve_vcc 1
		.amdhsa_float_round_mode_32 0
		.amdhsa_float_round_mode_16_64 0
		.amdhsa_float_denorm_mode_32 3
		.amdhsa_float_denorm_mode_16_64 3
		.amdhsa_dx10_clamp 1
		.amdhsa_ieee_mode 1
		.amdhsa_fp16_overflow 0
		.amdhsa_workgroup_processor_mode 1
		.amdhsa_memory_ordered 1
		.amdhsa_forward_progress 0
		.amdhsa_shared_vgpr_count 0
		.amdhsa_exception_fp_ieee_invalid_op 0
		.amdhsa_exception_fp_denorm_src 0
		.amdhsa_exception_fp_ieee_div_zero 0
		.amdhsa_exception_fp_ieee_overflow 0
		.amdhsa_exception_fp_ieee_underflow 0
		.amdhsa_exception_fp_ieee_inexact 0
		.amdhsa_exception_int_div_zero 0
	.end_amdhsa_kernel
	.text
.Lfunc_end0:
	.size	fft_rtc_back_len1960_factors_4_7_2_7_5_wgs_56_tpt_56_halfLds_dp_ip_CI_unitstride_sbrr_R2C_dirReg, .Lfunc_end0-fft_rtc_back_len1960_factors_4_7_2_7_5_wgs_56_tpt_56_halfLds_dp_ip_CI_unitstride_sbrr_R2C_dirReg
                                        ; -- End function
	.section	.AMDGPU.csdata,"",@progbits
; Kernel info:
; codeLenInByte = 30904
; NumSgprs: 28
; NumVgprs: 256
; ScratchSize: 12
; MemoryBound: 0
; FloatMode: 240
; IeeeMode: 1
; LDSByteSize: 0 bytes/workgroup (compile time only)
; SGPRBlocks: 3
; VGPRBlocks: 31
; NumSGPRsForWavesPerEU: 28
; NumVGPRsForWavesPerEU: 256
; Occupancy: 5
; WaveLimiterHint : 1
; COMPUTE_PGM_RSRC2:SCRATCH_EN: 1
; COMPUTE_PGM_RSRC2:USER_SGPR: 15
; COMPUTE_PGM_RSRC2:TRAP_HANDLER: 0
; COMPUTE_PGM_RSRC2:TGID_X_EN: 1
; COMPUTE_PGM_RSRC2:TGID_Y_EN: 0
; COMPUTE_PGM_RSRC2:TGID_Z_EN: 0
; COMPUTE_PGM_RSRC2:TIDIG_COMP_CNT: 0
	.text
	.p2alignl 7, 3214868480
	.fill 96, 4, 3214868480
	.type	__hip_cuid_958147571af0525c,@object ; @__hip_cuid_958147571af0525c
	.section	.bss,"aw",@nobits
	.globl	__hip_cuid_958147571af0525c
__hip_cuid_958147571af0525c:
	.byte	0                               ; 0x0
	.size	__hip_cuid_958147571af0525c, 1

	.ident	"AMD clang version 19.0.0git (https://github.com/RadeonOpenCompute/llvm-project roc-6.4.0 25133 c7fe45cf4b819c5991fe208aaa96edf142730f1d)"
	.section	".note.GNU-stack","",@progbits
	.addrsig
	.addrsig_sym __hip_cuid_958147571af0525c
	.amdgpu_metadata
---
amdhsa.kernels:
  - .args:
      - .actual_access:  read_only
        .address_space:  global
        .offset:         0
        .size:           8
        .value_kind:     global_buffer
      - .offset:         8
        .size:           8
        .value_kind:     by_value
      - .actual_access:  read_only
        .address_space:  global
        .offset:         16
        .size:           8
        .value_kind:     global_buffer
      - .actual_access:  read_only
        .address_space:  global
        .offset:         24
        .size:           8
        .value_kind:     global_buffer
      - .offset:         32
        .size:           8
        .value_kind:     by_value
      - .actual_access:  read_only
        .address_space:  global
        .offset:         40
        .size:           8
        .value_kind:     global_buffer
      - .actual_access:  read_only
        .address_space:  global
        .offset:         48
        .size:           8
        .value_kind:     global_buffer
      - .offset:         56
        .size:           4
        .value_kind:     by_value
      - .actual_access:  read_only
        .address_space:  global
        .offset:         64
        .size:           8
        .value_kind:     global_buffer
      - .actual_access:  read_only
        .address_space:  global
        .offset:         72
        .size:           8
        .value_kind:     global_buffer
      - .address_space:  global
        .offset:         80
        .size:           8
        .value_kind:     global_buffer
    .group_segment_fixed_size: 0
    .kernarg_segment_align: 8
    .kernarg_segment_size: 88
    .language:       OpenCL C
    .language_version:
      - 2
      - 0
    .max_flat_workgroup_size: 56
    .name:           fft_rtc_back_len1960_factors_4_7_2_7_5_wgs_56_tpt_56_halfLds_dp_ip_CI_unitstride_sbrr_R2C_dirReg
    .private_segment_fixed_size: 12
    .sgpr_count:     28
    .sgpr_spill_count: 0
    .symbol:         fft_rtc_back_len1960_factors_4_7_2_7_5_wgs_56_tpt_56_halfLds_dp_ip_CI_unitstride_sbrr_R2C_dirReg.kd
    .uniform_work_group_size: 1
    .uses_dynamic_stack: false
    .vgpr_count:     256
    .vgpr_spill_count: 2
    .wavefront_size: 32
    .workgroup_processor_mode: 1
amdhsa.target:   amdgcn-amd-amdhsa--gfx1100
amdhsa.version:
  - 1
  - 2
...

	.end_amdgpu_metadata
